;; amdgpu-corpus repo=ROCm/rocFFT kind=compiled arch=gfx906 opt=O3
	.text
	.amdgcn_target "amdgcn-amd-amdhsa--gfx906"
	.amdhsa_code_object_version 6
	.protected	fft_rtc_fwd_len2430_factors_10_3_3_3_3_3_wgs_81_tpt_81_halfLds_half_ip_CI_unitstride_sbrr_R2C_dirReg ; -- Begin function fft_rtc_fwd_len2430_factors_10_3_3_3_3_3_wgs_81_tpt_81_halfLds_half_ip_CI_unitstride_sbrr_R2C_dirReg
	.globl	fft_rtc_fwd_len2430_factors_10_3_3_3_3_3_wgs_81_tpt_81_halfLds_half_ip_CI_unitstride_sbrr_R2C_dirReg
	.p2align	8
	.type	fft_rtc_fwd_len2430_factors_10_3_3_3_3_3_wgs_81_tpt_81_halfLds_half_ip_CI_unitstride_sbrr_R2C_dirReg,@function
fft_rtc_fwd_len2430_factors_10_3_3_3_3_3_wgs_81_tpt_81_halfLds_half_ip_CI_unitstride_sbrr_R2C_dirReg: ; @fft_rtc_fwd_len2430_factors_10_3_3_3_3_3_wgs_81_tpt_81_halfLds_half_ip_CI_unitstride_sbrr_R2C_dirReg
; %bb.0:
	s_load_dwordx2 s[2:3], s[4:5], 0x50
	s_load_dwordx4 s[8:11], s[4:5], 0x0
	s_load_dwordx2 s[12:13], s[4:5], 0x18
	v_mul_u32_u24_e32 v1, 0x32a, v0
	v_add_u32_sdwa v5, s6, v1 dst_sel:DWORD dst_unused:UNUSED_PAD src0_sel:DWORD src1_sel:WORD_1
	v_mov_b32_e32 v3, 0
	s_waitcnt lgkmcnt(0)
	v_cmp_lt_u64_e64 s[0:1], s[10:11], 2
	v_mov_b32_e32 v1, 0
	v_mov_b32_e32 v6, v3
	s_and_b64 vcc, exec, s[0:1]
	v_mov_b32_e32 v2, 0
	s_cbranch_vccnz .LBB0_8
; %bb.1:
	s_load_dwordx2 s[0:1], s[4:5], 0x10
	s_add_u32 s6, s12, 8
	s_addc_u32 s7, s13, 0
	v_mov_b32_e32 v1, 0
	v_mov_b32_e32 v2, 0
	s_waitcnt lgkmcnt(0)
	s_add_u32 s14, s0, 8
	s_addc_u32 s15, s1, 0
	s_mov_b64 s[16:17], 1
.LBB0_2:                                ; =>This Inner Loop Header: Depth=1
	s_load_dwordx2 s[18:19], s[14:15], 0x0
                                        ; implicit-def: $vgpr7_vgpr8
	s_waitcnt lgkmcnt(0)
	v_or_b32_e32 v4, s19, v6
	v_cmp_ne_u64_e32 vcc, 0, v[3:4]
	s_and_saveexec_b64 s[0:1], vcc
	s_xor_b64 s[20:21], exec, s[0:1]
	s_cbranch_execz .LBB0_4
; %bb.3:                                ;   in Loop: Header=BB0_2 Depth=1
	v_cvt_f32_u32_e32 v4, s18
	v_cvt_f32_u32_e32 v7, s19
	s_sub_u32 s0, 0, s18
	s_subb_u32 s1, 0, s19
	v_mac_f32_e32 v4, 0x4f800000, v7
	v_rcp_f32_e32 v4, v4
	v_mul_f32_e32 v4, 0x5f7ffffc, v4
	v_mul_f32_e32 v7, 0x2f800000, v4
	v_trunc_f32_e32 v7, v7
	v_mac_f32_e32 v4, 0xcf800000, v7
	v_cvt_u32_f32_e32 v7, v7
	v_cvt_u32_f32_e32 v4, v4
	v_mul_lo_u32 v8, s0, v7
	v_mul_hi_u32 v9, s0, v4
	v_mul_lo_u32 v11, s1, v4
	v_mul_lo_u32 v10, s0, v4
	v_add_u32_e32 v8, v9, v8
	v_add_u32_e32 v8, v8, v11
	v_mul_hi_u32 v9, v4, v10
	v_mul_lo_u32 v11, v4, v8
	v_mul_hi_u32 v13, v4, v8
	v_mul_hi_u32 v12, v7, v10
	v_mul_lo_u32 v10, v7, v10
	v_mul_hi_u32 v14, v7, v8
	v_add_co_u32_e32 v9, vcc, v9, v11
	v_addc_co_u32_e32 v11, vcc, 0, v13, vcc
	v_mul_lo_u32 v8, v7, v8
	v_add_co_u32_e32 v9, vcc, v9, v10
	v_addc_co_u32_e32 v9, vcc, v11, v12, vcc
	v_addc_co_u32_e32 v10, vcc, 0, v14, vcc
	v_add_co_u32_e32 v8, vcc, v9, v8
	v_addc_co_u32_e32 v9, vcc, 0, v10, vcc
	v_add_co_u32_e32 v4, vcc, v4, v8
	v_addc_co_u32_e32 v7, vcc, v7, v9, vcc
	v_mul_lo_u32 v8, s0, v7
	v_mul_hi_u32 v9, s0, v4
	v_mul_lo_u32 v10, s1, v4
	v_mul_lo_u32 v11, s0, v4
	v_add_u32_e32 v8, v9, v8
	v_add_u32_e32 v8, v8, v10
	v_mul_lo_u32 v12, v4, v8
	v_mul_hi_u32 v13, v4, v11
	v_mul_hi_u32 v14, v4, v8
	;; [unrolled: 1-line block ×3, first 2 shown]
	v_mul_lo_u32 v11, v7, v11
	v_mul_hi_u32 v9, v7, v8
	v_add_co_u32_e32 v12, vcc, v13, v12
	v_addc_co_u32_e32 v13, vcc, 0, v14, vcc
	v_mul_lo_u32 v8, v7, v8
	v_add_co_u32_e32 v11, vcc, v12, v11
	v_addc_co_u32_e32 v10, vcc, v13, v10, vcc
	v_addc_co_u32_e32 v9, vcc, 0, v9, vcc
	v_add_co_u32_e32 v8, vcc, v10, v8
	v_addc_co_u32_e32 v9, vcc, 0, v9, vcc
	v_add_co_u32_e32 v4, vcc, v4, v8
	v_addc_co_u32_e32 v9, vcc, v7, v9, vcc
	v_mad_u64_u32 v[7:8], s[0:1], v5, v9, 0
	v_mul_hi_u32 v10, v5, v4
	v_add_co_u32_e32 v11, vcc, v10, v7
	v_addc_co_u32_e32 v12, vcc, 0, v8, vcc
	v_mad_u64_u32 v[7:8], s[0:1], v6, v4, 0
	v_mad_u64_u32 v[9:10], s[0:1], v6, v9, 0
	v_add_co_u32_e32 v4, vcc, v11, v7
	v_addc_co_u32_e32 v4, vcc, v12, v8, vcc
	v_addc_co_u32_e32 v7, vcc, 0, v10, vcc
	v_add_co_u32_e32 v4, vcc, v4, v9
	v_addc_co_u32_e32 v9, vcc, 0, v7, vcc
	v_mul_lo_u32 v10, s19, v4
	v_mul_lo_u32 v11, s18, v9
	v_mad_u64_u32 v[7:8], s[0:1], s18, v4, 0
	v_add3_u32 v8, v8, v11, v10
	v_sub_u32_e32 v10, v6, v8
	v_mov_b32_e32 v11, s19
	v_sub_co_u32_e32 v7, vcc, v5, v7
	v_subb_co_u32_e64 v10, s[0:1], v10, v11, vcc
	v_subrev_co_u32_e64 v11, s[0:1], s18, v7
	v_subbrev_co_u32_e64 v10, s[0:1], 0, v10, s[0:1]
	v_cmp_le_u32_e64 s[0:1], s19, v10
	v_cndmask_b32_e64 v12, 0, -1, s[0:1]
	v_cmp_le_u32_e64 s[0:1], s18, v11
	v_cndmask_b32_e64 v11, 0, -1, s[0:1]
	v_cmp_eq_u32_e64 s[0:1], s19, v10
	v_cndmask_b32_e64 v10, v12, v11, s[0:1]
	v_add_co_u32_e64 v11, s[0:1], 2, v4
	v_addc_co_u32_e64 v12, s[0:1], 0, v9, s[0:1]
	v_add_co_u32_e64 v13, s[0:1], 1, v4
	v_addc_co_u32_e64 v14, s[0:1], 0, v9, s[0:1]
	v_subb_co_u32_e32 v8, vcc, v6, v8, vcc
	v_cmp_ne_u32_e64 s[0:1], 0, v10
	v_cmp_le_u32_e32 vcc, s19, v8
	v_cndmask_b32_e64 v10, v14, v12, s[0:1]
	v_cndmask_b32_e64 v12, 0, -1, vcc
	v_cmp_le_u32_e32 vcc, s18, v7
	v_cndmask_b32_e64 v7, 0, -1, vcc
	v_cmp_eq_u32_e32 vcc, s19, v8
	v_cndmask_b32_e32 v7, v12, v7, vcc
	v_cmp_ne_u32_e32 vcc, 0, v7
	v_cndmask_b32_e64 v7, v13, v11, s[0:1]
	v_cndmask_b32_e32 v8, v9, v10, vcc
	v_cndmask_b32_e32 v7, v4, v7, vcc
.LBB0_4:                                ;   in Loop: Header=BB0_2 Depth=1
	s_andn2_saveexec_b64 s[0:1], s[20:21]
	s_cbranch_execz .LBB0_6
; %bb.5:                                ;   in Loop: Header=BB0_2 Depth=1
	v_cvt_f32_u32_e32 v4, s18
	s_sub_i32 s20, 0, s18
	v_rcp_iflag_f32_e32 v4, v4
	v_mul_f32_e32 v4, 0x4f7ffffe, v4
	v_cvt_u32_f32_e32 v4, v4
	v_mul_lo_u32 v7, s20, v4
	v_mul_hi_u32 v7, v4, v7
	v_add_u32_e32 v4, v4, v7
	v_mul_hi_u32 v4, v5, v4
	v_mul_lo_u32 v7, v4, s18
	v_add_u32_e32 v8, 1, v4
	v_sub_u32_e32 v7, v5, v7
	v_subrev_u32_e32 v9, s18, v7
	v_cmp_le_u32_e32 vcc, s18, v7
	v_cndmask_b32_e32 v7, v7, v9, vcc
	v_cndmask_b32_e32 v4, v4, v8, vcc
	v_add_u32_e32 v8, 1, v4
	v_cmp_le_u32_e32 vcc, s18, v7
	v_cndmask_b32_e32 v7, v4, v8, vcc
	v_mov_b32_e32 v8, v3
.LBB0_6:                                ;   in Loop: Header=BB0_2 Depth=1
	s_or_b64 exec, exec, s[0:1]
	v_mul_lo_u32 v4, v8, s18
	v_mul_lo_u32 v11, v7, s19
	v_mad_u64_u32 v[9:10], s[0:1], v7, s18, 0
	s_load_dwordx2 s[0:1], s[6:7], 0x0
	s_add_u32 s16, s16, 1
	v_add3_u32 v4, v10, v11, v4
	v_sub_co_u32_e32 v5, vcc, v5, v9
	v_subb_co_u32_e32 v4, vcc, v6, v4, vcc
	s_waitcnt lgkmcnt(0)
	v_mul_lo_u32 v4, s0, v4
	v_mul_lo_u32 v6, s1, v5
	v_mad_u64_u32 v[1:2], s[0:1], s0, v5, v[1:2]
	s_addc_u32 s17, s17, 0
	s_add_u32 s6, s6, 8
	v_add3_u32 v2, v6, v2, v4
	v_mov_b32_e32 v4, s10
	v_mov_b32_e32 v5, s11
	s_addc_u32 s7, s7, 0
	v_cmp_ge_u64_e32 vcc, s[16:17], v[4:5]
	s_add_u32 s14, s14, 8
	s_addc_u32 s15, s15, 0
	s_cbranch_vccnz .LBB0_9
; %bb.7:                                ;   in Loop: Header=BB0_2 Depth=1
	v_mov_b32_e32 v5, v7
	v_mov_b32_e32 v6, v8
	s_branch .LBB0_2
.LBB0_8:
	v_mov_b32_e32 v8, v6
	v_mov_b32_e32 v7, v5
.LBB0_9:
	s_lshl_b64 s[0:1], s[10:11], 3
	s_add_u32 s0, s12, s0
	s_addc_u32 s1, s13, s1
	s_load_dwordx2 s[6:7], s[0:1], 0x0
	s_load_dwordx2 s[10:11], s[4:5], 0x20
                                        ; implicit-def: $vgpr17
                                        ; implicit-def: $vgpr10
                                        ; implicit-def: $vgpr12
                                        ; implicit-def: $vgpr14
                                        ; implicit-def: $vgpr16
                                        ; implicit-def: $vgpr6
	s_waitcnt lgkmcnt(0)
	v_mad_u64_u32 v[1:2], s[0:1], s6, v7, v[1:2]
	s_mov_b32 s0, 0x3291620
	v_mul_lo_u32 v3, s6, v8
	v_mul_lo_u32 v4, s7, v7
	v_mul_hi_u32 v5, v0, s0
	v_cmp_gt_u64_e64 s[0:1], s[10:11], v[7:8]
	v_cmp_le_u64_e32 vcc, s[10:11], v[7:8]
	v_add3_u32 v2, v4, v2, v3
	v_mul_u32_u24_e32 v3, 0x51, v5
	v_sub_u32_e32 v0, v0, v3
                                        ; implicit-def: $vgpr4
                                        ; implicit-def: $vgpr8
                                        ; implicit-def: $vgpr7
	s_and_saveexec_b64 s[4:5], vcc
	s_xor_b64 s[4:5], exec, s[4:5]
; %bb.10:
	v_add_u32_e32 v4, 0x51, v0
	v_add_u32_e32 v17, 0xa2, v0
	;; [unrolled: 1-line block ×9, first 2 shown]
; %bb.11:
	s_or_saveexec_b64 s[4:5], s[4:5]
	v_lshlrev_b64 v[2:3], 2, v[1:2]
	s_xor_b64 exec, exec, s[4:5]
	s_cbranch_execz .LBB0_13
; %bb.12:
	v_mov_b32_e32 v1, 0
	v_mov_b32_e32 v4, s3
	v_add_co_u32_e32 v6, vcc, s2, v2
	v_addc_co_u32_e32 v7, vcc, v4, v3, vcc
	v_lshlrev_b64 v[4:5], 2, v[0:1]
	s_movk_i32 s6, 0x1000
	v_add_co_u32_e32 v4, vcc, v6, v4
	v_addc_co_u32_e32 v5, vcc, v7, v5, vcc
	v_add_co_u32_e32 v6, vcc, s6, v4
	v_addc_co_u32_e32 v7, vcc, 0, v5, vcc
	global_load_dword v1, v[4:5], off
	global_load_dword v11, v[4:5], off offset:324
	global_load_dword v13, v[4:5], off offset:648
	;; [unrolled: 1-line block ×7, first 2 shown]
	v_add_co_u32_e32 v8, vcc, 0x2000, v4
	global_load_dword v22, v[4:5], off offset:2592
	global_load_dword v23, v[4:5], off offset:2916
	;; [unrolled: 1-line block ×8, first 2 shown]
	v_addc_co_u32_e32 v9, vcc, 0, v5, vcc
	global_load_dword v5, v[6:7], off offset:1088
	global_load_dword v30, v[6:7], off offset:1412
	;; [unrolled: 1-line block ×14, first 2 shown]
	v_lshl_add_u32 v9, v0, 2, 0
	v_add_u32_e32 v4, 0x51, v0
	v_add_u32_e32 v17, 0xa2, v0
	;; [unrolled: 1-line block ×21, first 2 shown]
	s_waitcnt vmcnt(28)
	ds_write2_b32 v9, v1, v11 offset1:81
	s_waitcnt vmcnt(26)
	ds_write2_b32 v9, v13, v15 offset0:162 offset1:243
	s_waitcnt vmcnt(24)
	ds_write2_b32 v43, v18, v19 offset0:68 offset1:149
	;; [unrolled: 2-line block ×13, first 2 shown]
	v_add_u32_e32 v1, 0x2200, v9
	s_waitcnt vmcnt(0)
	ds_write2_b32 v1, v41, v42 offset0:92 offset1:173
.LBB0_13:
	s_or_b64 exec, exec, s[4:5]
	v_lshlrev_b32_e32 v1, 2, v0
	v_add_u32_e32 v26, 0, v1
	v_add_u32_e32 v5, 0x600, v26
	s_waitcnt lgkmcnt(0)
	s_barrier
	ds_read2_b32 v[18:19], v5 offset0:102 offset1:183
	v_add_u32_e32 v5, 0x1600, v26
	v_add_u32_e32 v9, 0x1c00, v26
	;; [unrolled: 1-line block ×3, first 2 shown]
	ds_read2_b32 v[20:21], v5 offset0:50 offset1:131
	ds_read2_b32 v[22:23], v9 offset0:152 offset1:233
	;; [unrolled: 1-line block ×3, first 2 shown]
	v_add_u32_e32 v39, 0x1800, v26
	v_add_u32_e32 v34, 0x1000, v26
	;; [unrolled: 1-line block ×3, first 2 shown]
	s_waitcnt lgkmcnt(1)
	v_sub_f16_e32 v11, v22, v20
	s_waitcnt lgkmcnt(0)
	v_sub_f16_e32 v15, v18, v24
	v_add_f16_e32 v11, v15, v11
	v_add_u32_e32 v15, 0x800, v26
	ds_read2_b32 v[27:28], v15 offset0:136 offset1:217
	ds_read2_b32 v[29:30], v39 offset0:84 offset1:165
	;; [unrolled: 1-line block ×5, first 2 shown]
	v_sub_f16_sdwa v15, v18, v24 dst_sel:DWORD dst_unused:UNUSED_PAD src0_sel:WORD_1 src1_sel:WORD_1
	v_sub_f16_sdwa v35, v22, v20 dst_sel:DWORD dst_unused:UNUSED_PAD src0_sel:WORD_1 src1_sel:WORD_1
	v_add_f16_e32 v15, v15, v35
	s_waitcnt lgkmcnt(2)
	v_sub_f16_e32 v35, v32, v30
	s_waitcnt lgkmcnt(1)
	v_sub_f16_e32 v36, v28, v42
	v_add_f16_e32 v38, v36, v35
	v_sub_f16_sdwa v35, v28, v42 dst_sel:DWORD dst_unused:UNUSED_PAD src0_sel:WORD_1 src1_sel:WORD_1
	v_sub_f16_sdwa v36, v32, v30 dst_sel:DWORD dst_unused:UNUSED_PAD src0_sel:WORD_1 src1_sel:WORD_1
	v_add_f16_e32 v57, v35, v36
	v_add_f16_e32 v35, v42, v30
	s_movk_i32 s5, 0x3b9c
	s_waitcnt lgkmcnt(0)
	v_fma_f16 v58, v35, -0.5, v44
	v_sub_f16_sdwa v59, v28, v32 dst_sel:DWORD dst_unused:UNUSED_PAD src0_sel:WORD_1 src1_sel:WORD_1
	v_add_f16_sdwa v36, v42, v30 dst_sel:DWORD dst_unused:UNUSED_PAD src0_sel:WORD_1 src1_sel:WORD_1
	v_lshrrev_b32_e32 v61, 16, v44
	s_movk_i32 s4, 0x38b4
	s_mov_b32 s10, 0xbb9c
	v_fma_f16 v35, v59, s5, v58
	v_sub_f16_sdwa v60, v42, v30 dst_sel:DWORD dst_unused:UNUSED_PAD src0_sel:WORD_1 src1_sel:WORD_1
	v_fma_f16 v62, v36, -0.5, v61
	v_sub_f16_e32 v63, v28, v32
	ds_read2_b32 v[45:46], v26 offset1:81
	s_movk_i32 s6, 0x34f2
	s_mov_b32 s7, 0xb8b4
	v_fma_f16 v35, v60, s4, v35
	v_fma_f16 v36, v63, s10, v62
	v_sub_f16_e32 v64, v42, v30
	v_fma_f16 v35, v38, s6, v35
	v_fma_f16 v36, v64, s7, v36
	s_movk_i32 s11, 0x3a79
	v_fma_f16 v36, v57, s6, v36
	v_mul_f16_e32 v37, 0x3a79, v35
	v_mul_f16_e32 v35, 0xb8b4, v35
	v_fma_f16 v66, v36, s11, v35
	v_add_f16_e32 v35, v24, v20
	s_waitcnt lgkmcnt(0)
	v_fma_f16 v67, v35, -0.5, v45
	v_sub_f16_sdwa v68, v18, v22 dst_sel:DWORD dst_unused:UNUSED_PAD src0_sel:WORD_1 src1_sel:WORD_1
	v_fma_f16 v35, v68, s5, v67
	v_sub_f16_sdwa v69, v24, v20 dst_sel:DWORD dst_unused:UNUSED_PAD src0_sel:WORD_1 src1_sel:WORD_1
	v_fma_f16 v35, v69, s4, v35
	v_fma_f16 v70, v11, s6, v35
	v_add_f16_sdwa v35, v24, v20 dst_sel:DWORD dst_unused:UNUSED_PAD src0_sel:WORD_1 src1_sel:WORD_1
	v_lshrrev_b32_e32 v71, 16, v45
	v_fma_f16 v72, v35, -0.5, v71
	v_sub_f16_e32 v73, v18, v22
	v_fma_f16 v35, v73, s10, v72
	v_sub_f16_e32 v74, v24, v20
	v_fma_f16 v35, v74, s7, v35
	v_fma_f16 v65, v36, s4, v37
	;; [unrolled: 1-line block ×3, first 2 shown]
	v_add_f16_e32 v35, v70, v65
	v_add_f16_e32 v36, v75, v66
	v_pack_b32_f16 v76, v35, v36
	v_mul_u32_u24_e32 v35, 10, v0
	v_lshl_add_u32 v77, v35, 2, 0
	v_pk_add_f16 v35, v45, v18
	v_pk_add_f16 v35, v35, v24
	;; [unrolled: 1-line block ×8, first 2 shown]
	v_add_u32_e32 v35, 0x400, v26
	v_add_u32_e32 v40, 0xc00, v26
	v_pk_add_f16 v80, v78, v79
	ds_read2_b32 v[47:48], v35 offset0:68 offset1:149
	v_add_u32_e32 v36, 0x1400, v26
	v_add_u32_e32 v37, 0x1a00, v26
	;; [unrolled: 1-line block ×3, first 2 shown]
	ds_read2_b32 v[49:50], v40 offset0:42 offset1:123
	ds_read2_b32 v[51:52], v36 offset0:16 offset1:97
	;; [unrolled: 1-line block ×4, first 2 shown]
	s_waitcnt lgkmcnt(0)
	s_barrier
	ds_write2_b32 v77, v80, v76 offset1:1
	v_sub_f16_e32 v76, v20, v22
	v_sub_f16_e32 v80, v24, v18
	v_add_f16_e32 v76, v80, v76
	v_add_f16_e32 v80, v18, v22
	v_fma_f16 v45, v80, -0.5, v45
	v_fma_f16 v80, v69, s10, v45
	v_fma_f16 v45, v69, s5, v45
	v_fma_f16 v80, v68, s4, v80
	v_fma_f16 v45, v68, s7, v45
	v_fma_f16 v80, v76, s6, v80
	v_fma_f16 v45, v76, s6, v45
	v_add_f16_sdwa v76, v18, v22 dst_sel:DWORD dst_unused:UNUSED_PAD src0_sel:WORD_1 src1_sel:WORD_1
	v_fma_f16 v71, v76, -0.5, v71
	v_sub_f16_sdwa v18, v24, v18 dst_sel:DWORD dst_unused:UNUSED_PAD src0_sel:WORD_1 src1_sel:WORD_1
	v_sub_f16_sdwa v20, v20, v22 dst_sel:DWORD dst_unused:UNUSED_PAD src0_sel:WORD_1 src1_sel:WORD_1
	v_add_f16_e32 v18, v18, v20
	v_fma_f16 v20, v74, s5, v71
	v_fma_f16 v22, v74, s10, v71
	;; [unrolled: 1-line block ×6, first 2 shown]
	v_sub_f16_e32 v22, v30, v32
	v_sub_f16_e32 v24, v42, v28
	v_add_f16_e32 v22, v24, v22
	v_add_f16_e32 v24, v28, v32
	v_fma_f16 v24, v24, -0.5, v44
	v_fma_f16 v44, v60, s10, v24
	v_fma_f16 v24, v60, s5, v24
	;; [unrolled: 1-line block ×6, first 2 shown]
	v_add_f16_sdwa v24, v28, v32 dst_sel:DWORD dst_unused:UNUSED_PAD src0_sel:WORD_1 src1_sel:WORD_1
	v_fma_f16 v24, v24, -0.5, v61
	v_sub_f16_sdwa v28, v42, v28 dst_sel:DWORD dst_unused:UNUSED_PAD src0_sel:WORD_1 src1_sel:WORD_1
	v_sub_f16_sdwa v30, v30, v32 dst_sel:DWORD dst_unused:UNUSED_PAD src0_sel:WORD_1 src1_sel:WORD_1
	v_add_f16_e32 v28, v28, v30
	v_fma_f16 v30, v64, s5, v24
	v_fma_f16 v30, v63, s7, v30
	;; [unrolled: 1-line block ×5, first 2 shown]
	v_mul_f16_e32 v32, 0xbb9c, v44
	v_fma_f16 v24, v28, s6, v24
	v_mul_f16_e32 v28, 0x3b9c, v30
	v_fma_f16 v30, v30, s6, v32
	v_mul_f16_e32 v32, 0x34f2, v22
	v_fma_f16 v32, v24, s5, -v32
	v_mul_f16_e32 v24, 0x34f2, v24
	v_fma_f16 v22, v22, s10, -v24
	v_fma_f16 v28, v44, s6, v28
	v_add_f16_e32 v24, v45, v32
	v_add_f16_e32 v42, v18, v22
	v_pack_b32_f16 v24, v24, v42
	v_add_f16_e32 v42, v80, v28
	v_add_f16_e32 v44, v20, v30
	v_pack_b32_f16 v42, v42, v44
	ds_write2_b32 v77, v42, v24 offset0:2 offset1:3
	v_fma_f16 v24, v68, s10, v67
	v_fma_f16 v24, v69, s7, v24
	;; [unrolled: 1-line block ×12, first 2 shown]
	v_mul_f16_e32 v42, 0x3a79, v24
	v_fma_f16 v42, v38, s4, -v42
	v_mul_f16_e32 v38, 0x3a79, v38
	v_fma_f16 v24, v24, s7, -v38
	v_add_f16_e32 v44, v11, v42
	v_add_f16_e32 v57, v15, v24
	v_pk_add_f16 v38, v78, v79 neg_lo:[0,1] neg_hi:[0,1]
	v_pack_b32_f16 v44, v44, v57
	ds_write2_b32 v77, v44, v38 offset0:4 offset1:5
	v_sub_f16_e32 v38, v70, v65
	v_sub_f16_e32 v28, v80, v28
	;; [unrolled: 1-line block ×4, first 2 shown]
	v_pack_b32_f16 v30, v38, v44
	v_pack_b32_f16 v20, v28, v20
	ds_write2_b32 v77, v30, v20 offset0:6 offset1:7
	v_sub_f16_e32 v20, v45, v32
	v_sub_f16_e32 v11, v11, v42
	;; [unrolled: 1-line block ×4, first 2 shown]
	v_pack_b32_f16 v11, v11, v15
	v_pack_b32_f16 v15, v20, v18
	ds_write2_b32 v77, v15, v11 offset0:8 offset1:9
	v_pk_add_f16 v11, v43, v27
	v_pk_add_f16 v11, v11, v41
	;; [unrolled: 1-line block ×3, first 2 shown]
	v_add_f16_e32 v15, v41, v29
	v_sub_f16_sdwa v18, v41, v29 dst_sel:DWORD dst_unused:UNUSED_PAD src0_sel:WORD_1 src1_sel:WORD_1
	v_sub_f16_e32 v20, v27, v41
	v_sub_f16_e32 v22, v41, v27
	v_add_f16_sdwa v24, v41, v29 dst_sel:DWORD dst_unused:UNUSED_PAD src0_sel:WORD_1 src1_sel:WORD_1
	v_sub_f16_e32 v28, v41, v29
	v_sub_f16_sdwa v30, v27, v41 dst_sel:DWORD dst_unused:UNUSED_PAD src0_sel:WORD_1 src1_sel:WORD_1
	v_sub_f16_sdwa v32, v41, v27 dst_sel:DWORD dst_unused:UNUSED_PAD src0_sel:WORD_1 src1_sel:WORD_1
	;; [unrolled: 1-line block ×3, first 2 shown]
	v_add_f16_e32 v41, v27, v31
	v_sub_f16_e32 v42, v27, v31
	v_add_f16_sdwa v27, v27, v31 dst_sel:DWORD dst_unused:UNUSED_PAD src0_sel:WORD_1 src1_sel:WORD_1
	v_sub_f16_e32 v44, v31, v29
	v_sub_f16_e32 v45, v29, v31
	v_sub_f16_sdwa v57, v31, v29 dst_sel:DWORD dst_unused:UNUSED_PAD src0_sel:WORD_1 src1_sel:WORD_1
	v_sub_f16_sdwa v29, v29, v31 dst_sel:DWORD dst_unused:UNUSED_PAD src0_sel:WORD_1 src1_sel:WORD_1
	v_pk_add_f16 v31, v11, v31
	v_pk_add_f16 v11, v46, v19
	v_add_f16_e32 v58, v25, v21
	v_add_f16_e32 v66, v19, v23
	v_pk_add_f16 v11, v11, v25
	v_sub_f16_sdwa v59, v25, v21 dst_sel:DWORD dst_unused:UNUSED_PAD src0_sel:WORD_1 src1_sel:WORD_1
	v_sub_f16_e32 v60, v19, v25
	v_sub_f16_e32 v61, v25, v19
	v_add_f16_sdwa v62, v25, v21 dst_sel:DWORD dst_unused:UNUSED_PAD src0_sel:WORD_1 src1_sel:WORD_1
	v_sub_f16_e32 v63, v25, v21
	v_sub_f16_sdwa v64, v19, v25 dst_sel:DWORD dst_unused:UNUSED_PAD src0_sel:WORD_1 src1_sel:WORD_1
	v_sub_f16_sdwa v25, v25, v19 dst_sel:DWORD dst_unused:UNUSED_PAD src0_sel:WORD_1 src1_sel:WORD_1
	;; [unrolled: 1-line block ×3, first 2 shown]
	v_sub_f16_e32 v67, v19, v23
	v_add_f16_sdwa v19, v19, v23 dst_sel:DWORD dst_unused:UNUSED_PAD src0_sel:WORD_1 src1_sel:WORD_1
	v_pk_add_f16 v71, v47, v49
	v_fma_f16 v58, v58, -0.5, v46
	v_fma_f16 v66, v66, -0.5, v46
	v_lshrrev_b32_e32 v46, 16, v46
	v_pk_add_f16 v11, v11, v21
	v_sub_f16_e32 v68, v23, v21
	v_sub_f16_e32 v69, v21, v23
	v_sub_f16_sdwa v70, v23, v21 dst_sel:DWORD dst_unused:UNUSED_PAD src0_sel:WORD_1 src1_sel:WORD_1
	v_sub_f16_sdwa v21, v21, v23 dst_sel:DWORD dst_unused:UNUSED_PAD src0_sel:WORD_1 src1_sel:WORD_1
	v_pk_add_f16 v71, v71, v51
	v_add_f16_e32 v90, v49, v55
	v_fma_f16 v19, v19, -0.5, v46
	v_pk_add_f16 v23, v11, v23
	v_pk_add_f16 v11, v48, v50
	v_add_f16_e32 v79, v51, v53
	v_sub_f16_sdwa v80, v51, v53 dst_sel:DWORD dst_unused:UNUSED_PAD src0_sel:WORD_1 src1_sel:WORD_1
	v_pk_add_f16 v71, v71, v53
	v_fma_f16 v62, v62, -0.5, v46
	v_add_f16_e32 v21, v25, v21
	v_fma_f16 v25, v63, s5, v19
	v_fma_f16 v19, v63, s10, v19
	v_fma_f16 v46, v90, -0.5, v47
	v_pk_add_f16 v11, v11, v52
	v_sub_f16_e32 v81, v49, v51
	v_sub_f16_e32 v82, v51, v49
	v_add_f16_sdwa v83, v51, v53 dst_sel:DWORD dst_unused:UNUSED_PAD src0_sel:WORD_1 src1_sel:WORD_1
	v_sub_f16_e32 v84, v51, v53
	v_sub_f16_sdwa v85, v49, v51 dst_sel:DWORD dst_unused:UNUSED_PAD src0_sel:WORD_1 src1_sel:WORD_1
	v_sub_f16_sdwa v51, v51, v49 dst_sel:DWORD dst_unused:UNUSED_PAD src0_sel:WORD_1 src1_sel:WORD_1
	;; [unrolled: 1-line block ×3, first 2 shown]
	v_sub_f16_e32 v91, v49, v55
	v_add_f16_sdwa v49, v49, v55 dst_sel:DWORD dst_unused:UNUSED_PAD src0_sel:WORD_1 src1_sel:WORD_1
	v_sub_f16_e32 v95, v55, v53
	v_sub_f16_e32 v96, v53, v55
	v_sub_f16_sdwa v97, v55, v53 dst_sel:DWORD dst_unused:UNUSED_PAD src0_sel:WORD_1 src1_sel:WORD_1
	v_sub_f16_sdwa v53, v53, v55 dst_sel:DWORD dst_unused:UNUSED_PAD src0_sel:WORD_1 src1_sel:WORD_1
	v_pk_add_f16 v55, v71, v55
	v_fma_f16 v71, v79, -0.5, v47
	v_lshrrev_b32_e32 v79, 16, v47
	v_fma_f16 v25, v67, s7, v25
	v_fma_f16 v19, v67, s4, v19
	;; [unrolled: 1-line block ×4, first 2 shown]
	v_pk_add_f16 v11, v11, v54
	v_fma_f16 v25, v21, s6, v25
	v_fma_f16 v19, v21, s6, v19
	v_add_f16_e32 v21, v82, v96
	v_fma_f16 v47, v89, s4, v47
	v_fma_f16 v46, v89, s7, v46
	v_add_f16_e32 v72, v52, v54
	v_sub_f16_sdwa v73, v52, v54 dst_sel:DWORD dst_unused:UNUSED_PAD src0_sel:WORD_1 src1_sel:WORD_1
	v_sub_f16_e32 v74, v50, v52
	v_sub_f16_e32 v75, v52, v50
	v_add_f16_sdwa v76, v52, v54 dst_sel:DWORD dst_unused:UNUSED_PAD src0_sel:WORD_1 src1_sel:WORD_1
	v_sub_f16_e32 v77, v52, v54
	v_sub_f16_sdwa v78, v50, v52 dst_sel:DWORD dst_unused:UNUSED_PAD src0_sel:WORD_1 src1_sel:WORD_1
	v_sub_f16_sdwa v52, v52, v50 dst_sel:DWORD dst_unused:UNUSED_PAD src0_sel:WORD_1 src1_sel:WORD_1
	;; [unrolled: 1-line block ×3, first 2 shown]
	v_add_f16_e32 v87, v50, v56
	v_sub_f16_e32 v88, v50, v56
	v_add_f16_sdwa v50, v50, v56 dst_sel:DWORD dst_unused:UNUSED_PAD src0_sel:WORD_1 src1_sel:WORD_1
	v_sub_f16_e32 v92, v56, v54
	v_sub_f16_e32 v93, v54, v56
	v_sub_f16_sdwa v94, v56, v54 dst_sel:DWORD dst_unused:UNUSED_PAD src0_sel:WORD_1 src1_sel:WORD_1
	v_sub_f16_sdwa v54, v54, v56 dst_sel:DWORD dst_unused:UNUSED_PAD src0_sel:WORD_1 src1_sel:WORD_1
	v_pk_add_f16 v56, v11, v56
	v_add_f16_e32 v60, v60, v68
	v_add_f16_e32 v68, v81, v95
	v_fma_f16 v11, v89, s5, v71
	v_fma_f16 v81, v83, -0.5, v79
	v_fma_f16 v47, v21, s6, v47
	v_fma_f16 v21, v21, s6, v46
	v_fma_f16 v46, v49, -0.5, v79
	v_fma_f16 v11, v80, s4, v11
	v_fma_f16 v83, v91, s10, v81
	v_add_f16_e32 v49, v51, v53
	v_fma_f16 v51, v84, s5, v46
	v_add_f16_e32 v64, v64, v70
	v_add_f16_e32 v70, v85, v97
	v_fma_f16 v11, v68, s6, v11
	v_fma_f16 v83, v84, s7, v83
	;; [unrolled: 1-line block ×5, first 2 shown]
	v_mul_f16_e32 v85, 0x3a79, v11
	v_mul_f16_e32 v11, 0xb8b4, v11
	v_fma_f16 v51, v49, s6, v51
	v_fma_f16 v46, v91, s4, v46
	;; [unrolled: 1-line block ×6, first 2 shown]
	v_mul_f16_e32 v49, 0x3b9c, v51
	v_fma_f16 v11, v59, s4, v11
	v_fma_f16 v49, v47, s6, v49
	v_mul_f16_e32 v47, 0xbb9c, v47
	v_fma_f16 v95, v60, s6, v11
	v_fma_f16 v11, v67, s10, v62
	v_add_f16_e32 v61, v61, v69
	v_fma_f16 v69, v59, s10, v66
	v_fma_f16 v66, v59, s5, v66
	;; [unrolled: 1-line block ×3, first 2 shown]
	v_mul_f16_e32 v51, 0x34f2, v21
	v_fma_f16 v11, v63, s7, v11
	v_fma_f16 v69, v65, s4, v69
	;; [unrolled: 1-line block ×3, first 2 shown]
	v_fma_f16 v51, v46, s5, -v51
	v_mul_f16_e32 v46, 0x34f2, v46
	v_fma_f16 v97, v64, s6, v11
	v_fma_f16 v69, v61, s6, v69
	;; [unrolled: 1-line block ×3, first 2 shown]
	v_fma_f16 v21, v21, s10, -v46
	v_add_f16_e32 v11, v95, v85
	v_add_f16_e32 v98, v97, v83
	;; [unrolled: 1-line block ×4, first 2 shown]
	v_pack_b32_f16 v98, v11, v98
	v_mul_i32_i24_e32 v11, 10, v4
	v_pack_b32_f16 v46, v46, v53
	v_add_f16_e32 v53, v69, v49
	v_add_f16_e32 v66, v25, v47
	v_lshl_add_u32 v11, v11, 2, 0
	v_pack_b32_f16 v53, v53, v66
	ds_write2_b32 v11, v53, v46 offset0:2 offset1:3
	v_fma_f16 v46, v65, s10, v58
	v_fma_f16 v58, v89, s10, v71
	;; [unrolled: 1-line block ×10, first 2 shown]
	v_mul_f16_e32 v60, 0x3a79, v58
	v_fma_f16 v53, v63, s4, v53
	v_fma_f16 v60, v59, s4, -v60
	v_mul_f16_e32 v59, 0x3a79, v59
	v_fma_f16 v53, v64, s6, v53
	v_fma_f16 v58, v58, s7, -v59
	v_pk_add_f16 v99, v23, v55
	v_pk_add_f16 v23, v23, v55 neg_lo:[0,1] neg_hi:[0,1]
	v_add_f16_e32 v55, v46, v60
	v_add_f16_e32 v59, v53, v58
	v_pack_b32_f16 v55, v55, v59
	ds_write2_b32 v11, v55, v23 offset0:4 offset1:5
	v_sub_f16_e32 v23, v95, v85
	v_sub_f16_e32 v49, v69, v49
	;; [unrolled: 1-line block ×4, first 2 shown]
	v_pack_b32_f16 v23, v23, v55
	v_pack_b32_f16 v25, v49, v25
	ds_write2_b32 v11, v23, v25 offset0:6 offset1:7
	v_sub_f16_e32 v23, v61, v51
	v_sub_f16_e32 v25, v46, v60
	;; [unrolled: 1-line block ×4, first 2 shown]
	v_pack_b32_f16 v21, v25, v21
	v_pack_b32_f16 v19, v23, v19
	ds_write2_b32 v11, v19, v21 offset0:8 offset1:9
	v_fma_f16 v21, v41, -0.5, v43
	v_add_f16_e32 v22, v22, v45
	v_fma_f16 v45, v18, s10, v21
	v_fma_f16 v21, v18, s5, v21
	v_lshrrev_b32_e32 v23, 16, v43
	v_fma_f16 v45, v38, s4, v45
	v_fma_f16 v21, v38, s7, v21
	;; [unrolled: 1-line block ×4, first 2 shown]
	v_fma_f16 v22, v27, -0.5, v23
	v_add_f16_e32 v19, v20, v44
	v_fma_f16 v20, v15, -0.5, v43
	v_fma_f16 v41, v72, -0.5, v48
	;; [unrolled: 1-line block ×3, first 2 shown]
	v_lshrrev_b32_e32 v44, 16, v48
	v_fma_f16 v27, v28, s5, v22
	v_fma_f16 v22, v28, s10, v22
	;; [unrolled: 1-line block ×3, first 2 shown]
	v_fma_f16 v47, v76, -0.5, v44
	v_fma_f16 v24, v24, -0.5, v23
	v_add_f16_e32 v23, v32, v29
	v_fma_f16 v27, v42, s7, v27
	v_fma_f16 v22, v42, s4, v22
	;; [unrolled: 1-line block ×4, first 2 shown]
	v_add_f16_e32 v25, v30, v57
	v_add_f16_e32 v30, v74, v92
	v_fma_f16 v15, v73, s4, v15
	v_fma_f16 v48, v88, s10, v47
	;; [unrolled: 1-line block ×4, first 2 shown]
	v_add_f16_e32 v23, v75, v93
	v_fma_f16 v29, v86, s4, v29
	v_fma_f16 v32, v86, s7, v32
	v_add_f16_e32 v46, v78, v94
	v_fma_f16 v15, v30, s6, v15
	v_fma_f16 v48, v77, s7, v48
	;; [unrolled: 1-line block ×4, first 2 shown]
	v_fma_f16 v32, v50, -0.5, v44
	v_fma_f16 v48, v46, s6, v48
	v_mul_f16_e32 v49, 0x3a79, v15
	v_mul_f16_e32 v15, 0xb8b4, v15
	v_fma_f16 v44, v77, s5, v32
	v_fma_f16 v49, v48, s4, v49
	;; [unrolled: 1-line block ×4, first 2 shown]
	v_add_f16_e32 v43, v52, v54
	v_fma_f16 v44, v88, s7, v44
	v_fma_f16 v32, v77, s10, v32
	;; [unrolled: 1-line block ×11, first 2 shown]
	v_mul_f16_e32 v43, 0x3b9c, v44
	v_fma_f16 v18, v19, s6, v18
	v_fma_f16 v19, v42, s5, v24
	;; [unrolled: 1-line block ×6, first 2 shown]
	v_mul_f16_e32 v29, 0xbb9c, v29
	v_fma_f16 v19, v28, s4, v19
	v_fma_f16 v20, v30, s6, v20
	;; [unrolled: 1-line block ×5, first 2 shown]
	v_mul_f16_e32 v44, 0x34f2, v23
	v_fma_f16 v19, v25, s6, v19
	v_fma_f16 v24, v46, s6, v24
	v_mul_f16_e32 v25, 0x3a79, v20
	v_fma_f16 v44, v32, s5, -v44
	v_mul_f16_e32 v32, 0x34f2, v32
	v_fma_f16 v25, v24, s4, -v25
	v_mul_f16_e32 v24, 0x3a79, v24
	v_add_f16_e32 v15, v51, v49
	v_add_f16_e32 v55, v53, v48
	v_fma_f16 v23, v23, s10, -v32
	v_fma_f16 v20, v20, s7, -v24
	v_pack_b32_f16 v55, v15, v55
	v_mul_i32_i24_e32 v15, 10, v17
	v_add_f16_e32 v32, v21, v44
	v_add_f16_e32 v50, v22, v23
	;; [unrolled: 1-line block ×4, first 2 shown]
	v_sub_f16_e32 v21, v21, v44
	v_sub_f16_e32 v18, v18, v25
	;; [unrolled: 1-line block ×4, first 2 shown]
	v_lshl_add_u32 v15, v15, 2, 0
	v_pack_b32_f16 v18, v18, v19
	v_pack_b32_f16 v19, v21, v22
	s_movk_i32 s4, 0xcd
	ds_write2_b32 v11, v99, v98 offset1:1
	ds_write2_b32 v15, v19, v18 offset0:8 offset1:9
	v_mul_lo_u16_sdwa v18, v0, s4 dst_sel:DWORD dst_unused:UNUSED_PAD src0_sel:BYTE_0 src1_sel:DWORD
	v_lshrrev_b16_e32 v20, 11, v18
	v_pk_add_f16 v24, v31, v56 neg_lo:[0,1] neg_hi:[0,1]
	v_pack_b32_f16 v28, v28, v30
	v_mul_lo_u16_e32 v18, 10, v20
	v_pack_b32_f16 v32, v32, v50
	v_add_f16_e32 v50, v45, v43
	v_add_f16_e32 v52, v27, v29
	ds_write2_b32 v15, v28, v24 offset0:4 offset1:5
	v_sub_f16_e32 v24, v51, v49
	v_sub_f16_e32 v28, v45, v43
	;; [unrolled: 1-line block ×4, first 2 shown]
	v_sub_u16_e32 v21, v0, v18
	v_mov_b32_e32 v23, 3
	v_pk_add_f16 v57, v31, v56
	v_pack_b32_f16 v50, v50, v52
	v_pack_b32_f16 v24, v24, v30
	;; [unrolled: 1-line block ×3, first 2 shown]
	v_lshlrev_b32_sdwa v18, v23, v21 dst_sel:DWORD dst_unused:UNUSED_PAD src0_sel:DWORD src1_sel:BYTE_0
	ds_write2_b32 v15, v57, v55 offset1:1
	ds_write2_b32 v15, v50, v32 offset0:2 offset1:3
	ds_write2_b32 v15, v24, v27 offset0:6 offset1:7
	s_waitcnt lgkmcnt(0)
	s_barrier
	global_load_dwordx2 v[41:42], v18, s[8:9]
	v_mul_lo_u16_sdwa v18, v4, s4 dst_sel:DWORD dst_unused:UNUSED_PAD src0_sel:BYTE_0 src1_sel:DWORD
	v_lshrrev_b16_e32 v43, 11, v18
	v_mul_lo_u16_e32 v18, 10, v43
	v_sub_u16_e32 v44, v4, v18
	v_lshlrev_b32_sdwa v18, v23, v44 dst_sel:DWORD dst_unused:UNUSED_PAD src0_sel:DWORD src1_sel:BYTE_0
	global_load_dwordx2 v[55:56], v18, s[8:9]
	v_mul_lo_u16_sdwa v18, v17, s4 dst_sel:DWORD dst_unused:UNUSED_PAD src0_sel:BYTE_0 src1_sel:DWORD
	v_lshrrev_b16_e32 v24, 11, v18
	v_mul_lo_u16_e32 v18, 10, v24
	v_sub_u16_e32 v25, v17, v18
	s_mov_b32 s4, 0xcccd
	v_lshlrev_b32_sdwa v19, v23, v25 dst_sel:DWORD dst_unused:UNUSED_PAD src0_sel:DWORD src1_sel:BYTE_0
	v_mul_u32_u24_sdwa v18, v8, s4 dst_sel:DWORD dst_unused:UNUSED_PAD src0_sel:WORD_0 src1_sel:DWORD
	global_load_dwordx2 v[57:58], v19, s[8:9]
	v_lshrrev_b32_e32 v18, 19, v18
	v_mul_lo_u16_e32 v19, 10, v18
	v_sub_u16_e32 v19, v8, v19
	v_lshlrev_b32_e32 v22, 3, v19
	global_load_dwordx2 v[59:60], v22, s[8:9]
	v_mul_u32_u24_sdwa v22, v10, s4 dst_sel:DWORD dst_unused:UNUSED_PAD src0_sel:WORD_0 src1_sel:DWORD
	v_lshrrev_b32_e32 v47, 19, v22
	v_mul_lo_u16_e32 v22, 10, v47
	v_sub_u16_e32 v48, v10, v22
	ds_read2_b32 v[61:62], v40 offset0:42 offset1:123
	v_lshlrev_b32_e32 v22, 3, v48
	global_load_dwordx2 v[63:64], v22, s[8:9]
	v_mul_u32_u24_sdwa v51, v12, s4 dst_sel:DWORD dst_unused:UNUSED_PAD src0_sel:WORD_0 src1_sel:DWORD
	v_lshrrev_b32_e32 v51, 19, v51
	v_mul_lo_u16_e32 v52, 10, v51
	v_sub_u16_e32 v52, v12, v52
	v_lshl_add_u32 v32, v8, 2, 0
	v_lshl_add_u32 v31, v10, 2, 0
	;; [unrolled: 1-line block ×6, first 2 shown]
	ds_read_u16 v22, v26 offset:3242
	ds_read_b32 v54, v32
	ds_read_b32 v53, v31
	;; [unrolled: 1-line block ×6, first 2 shown]
	v_lshlrev_b32_e32 v65, 3, v52
	global_load_dwordx2 v[65:66], v65, s[8:9]
	v_mul_u32_u24_sdwa v71, v6, s4 dst_sel:DWORD dst_unused:UNUSED_PAD src0_sel:WORD_0 src1_sel:DWORD
	ds_read2_b32 v[67:68], v39 offset0:84 offset1:165
	ds_read_b32 v73, v26
	v_lshrrev_b32_e32 v86, 19, v71
	v_mul_lo_u16_e32 v71, 10, v86
	v_sub_u16_e32 v87, v6, v71
	v_lshlrev_b32_e32 v71, 3, v87
	global_load_dwordx2 v[71:72], v71, s[8:9]
	v_mul_u32_u24_e32 v20, 0x78, v20
	s_mov_b32 s5, 0xbaee
	s_movk_i32 s6, 0xffdc
	v_mul_u32_u24_e32 v43, 0x78, v43
	v_mul_u32_u24_e32 v24, 0x78, v24
	;; [unrolled: 1-line block ×3, first 2 shown]
	v_lshlrev_b32_e32 v19, 2, v19
	v_add3_u32 v18, 0, v18, v19
	s_waitcnt vmcnt(6) lgkmcnt(9)
	v_mul_f16_sdwa v38, v41, v61 dst_sel:DWORD dst_unused:UNUSED_PAD src0_sel:WORD_1 src1_sel:DWORD
	s_waitcnt lgkmcnt(8)
	v_fma_f16 v38, v22, v41, v38
	v_mul_f16_sdwa v22, v22, v41 dst_sel:DWORD dst_unused:UNUSED_PAD src0_sel:DWORD src1_sel:WORD_1
	v_fma_f16 v22, v41, v61, -v22
	v_mul_u32_u24_sdwa v61, v14, s4 dst_sel:DWORD dst_unused:UNUSED_PAD src0_sel:WORD_0 src1_sel:DWORD
	v_lshrrev_b32_e32 v74, 19, v61
	v_mul_lo_u16_e32 v61, 10, v74
	v_sub_u16_e32 v75, v14, v61
	v_lshlrev_b32_e32 v61, 3, v75
	s_waitcnt lgkmcnt(1)
	v_lshrrev_b32_e32 v41, 16, v67
	global_load_dwordx2 v[69:70], v61, s[8:9]
	v_mul_f16_sdwa v61, v67, v42 dst_sel:DWORD dst_unused:UNUSED_PAD src0_sel:DWORD src1_sel:WORD_1
	v_fma_f16 v76, v41, v42, v61
	v_mul_f16_sdwa v41, v41, v42 dst_sel:DWORD dst_unused:UNUSED_PAD src0_sel:DWORD src1_sel:WORD_1
	v_fma_f16 v77, v67, v42, -v41
	v_mul_u32_u24_sdwa v41, v16, s4 dst_sel:DWORD dst_unused:UNUSED_PAD src0_sel:WORD_0 src1_sel:DWORD
	v_lshrrev_b32_e32 v78, 19, v41
	v_mul_lo_u16_e32 v41, 10, v78
	v_sub_u16_e32 v79, v16, v41
	v_lshlrev_b32_e32 v41, 3, v79
	global_load_dwordx2 v[41:42], v41, s[8:9]
	v_lshrrev_b32_e32 v61, 16, v62
	s_waitcnt vmcnt(7)
	v_mul_f16_sdwa v67, v61, v55 dst_sel:DWORD dst_unused:UNUSED_PAD src0_sel:DWORD src1_sel:WORD_1
	v_fma_f16 v80, v62, v55, -v67
	v_mul_f16_sdwa v62, v62, v55 dst_sel:DWORD dst_unused:UNUSED_PAD src0_sel:DWORD src1_sel:WORD_1
	v_fma_f16 v81, v61, v55, v62
	v_mul_u32_u24_sdwa v61, v7, s4 dst_sel:DWORD dst_unused:UNUSED_PAD src0_sel:WORD_0 src1_sel:DWORD
	v_lshrrev_b32_e32 v82, 19, v61
	v_mul_lo_u16_e32 v61, 10, v82
	v_sub_u16_e32 v83, v7, v61
	v_lshlrev_b32_e32 v61, 3, v83
	global_load_dwordx2 v[61:62], v61, s[8:9]
	v_lshrrev_b32_e32 v55, 16, v68
	v_mul_f16_sdwa v67, v55, v56 dst_sel:DWORD dst_unused:UNUSED_PAD src0_sel:DWORD src1_sel:WORD_1
	v_fma_f16 v84, v68, v56, -v67
	v_mul_f16_sdwa v85, v68, v56 dst_sel:DWORD dst_unused:UNUSED_PAD src0_sel:DWORD src1_sel:WORD_1
	ds_read2_b32 v[67:68], v13 offset0:76 offset1:157
	v_fma_f16 v85, v55, v56, v85
	ds_read2_b32 v[55:56], v37 offset0:118 offset1:199
	v_sub_f16_e32 v102, v38, v76
	s_movk_i32 s4, 0x3aee
	s_waitcnt lgkmcnt(1)
	v_lshrrev_b32_e32 v88, 16, v67
	s_waitcnt vmcnt(7)
	v_mul_f16_sdwa v89, v67, v57 dst_sel:DWORD dst_unused:UNUSED_PAD src0_sel:DWORD src1_sel:WORD_1
	v_fma_f16 v89, v88, v57, v89
	v_mul_f16_sdwa v88, v88, v57 dst_sel:DWORD dst_unused:UNUSED_PAD src0_sel:DWORD src1_sel:WORD_1
	v_fma_f16 v67, v67, v57, -v88
	s_waitcnt lgkmcnt(0)
	v_lshrrev_b32_e32 v57, 16, v55
	v_mul_f16_sdwa v88, v55, v58 dst_sel:DWORD dst_unused:UNUSED_PAD src0_sel:DWORD src1_sel:WORD_1
	v_fma_f16 v88, v57, v58, v88
	v_mul_f16_sdwa v57, v57, v58 dst_sel:DWORD dst_unused:UNUSED_PAD src0_sel:DWORD src1_sel:WORD_1
	v_fma_f16 v90, v55, v58, -v57
	v_lshrrev_b32_e32 v55, 16, v68
	s_waitcnt vmcnt(6)
	v_mul_f16_sdwa v57, v55, v59 dst_sel:DWORD dst_unused:UNUSED_PAD src0_sel:DWORD src1_sel:WORD_1
	v_fma_f16 v91, v68, v59, -v57
	v_mul_f16_sdwa v57, v68, v59 dst_sel:DWORD dst_unused:UNUSED_PAD src0_sel:DWORD src1_sel:WORD_1
	v_fma_f16 v59, v55, v59, v57
	v_lshrrev_b32_e32 v55, 16, v56
	ds_read2_b32 v[57:58], v34 offset0:110 offset1:191
	v_mul_f16_sdwa v68, v55, v60 dst_sel:DWORD dst_unused:UNUSED_PAD src0_sel:DWORD src1_sel:WORD_1
	v_fma_f16 v68, v56, v60, -v68
	v_mul_f16_sdwa v56, v56, v60 dst_sel:DWORD dst_unused:UNUSED_PAD src0_sel:DWORD src1_sel:WORD_1
	v_fma_f16 v60, v55, v60, v56
	ds_read2_b32 v[55:56], v9 offset0:152 offset1:233
	s_waitcnt lgkmcnt(1)
	v_lshrrev_b32_e32 v92, 16, v57
	s_waitcnt vmcnt(5)
	v_mul_f16_sdwa v93, v57, v63 dst_sel:DWORD dst_unused:UNUSED_PAD src0_sel:DWORD src1_sel:WORD_1
	v_fma_f16 v93, v92, v63, v93
	v_mul_f16_sdwa v92, v92, v63 dst_sel:DWORD dst_unused:UNUSED_PAD src0_sel:DWORD src1_sel:WORD_1
	v_fma_f16 v63, v57, v63, -v92
	s_waitcnt lgkmcnt(0)
	v_lshrrev_b32_e32 v57, 16, v55
	v_mul_f16_sdwa v92, v55, v64 dst_sel:DWORD dst_unused:UNUSED_PAD src0_sel:DWORD src1_sel:WORD_1
	v_fma_f16 v92, v57, v64, v92
	v_mul_f16_sdwa v57, v57, v64 dst_sel:DWORD dst_unused:UNUSED_PAD src0_sel:DWORD src1_sel:WORD_1
	v_fma_f16 v64, v55, v64, -v57
	v_lshrrev_b32_e32 v55, 16, v58
	s_waitcnt vmcnt(4)
	v_mul_f16_sdwa v57, v55, v65 dst_sel:DWORD dst_unused:UNUSED_PAD src0_sel:DWORD src1_sel:WORD_1
	v_fma_f16 v94, v58, v65, -v57
	v_mul_f16_sdwa v57, v58, v65 dst_sel:DWORD dst_unused:UNUSED_PAD src0_sel:DWORD src1_sel:WORD_1
	v_fma_f16 v65, v55, v65, v57
	v_lshrrev_b32_e32 v55, 16, v56
	ds_read2_b32 v[57:58], v36 offset0:16 offset1:97
	v_mul_f16_sdwa v95, v55, v66 dst_sel:DWORD dst_unused:UNUSED_PAD src0_sel:DWORD src1_sel:WORD_1
	v_fma_f16 v95, v56, v66, -v95
	v_mul_f16_sdwa v56, v56, v66 dst_sel:DWORD dst_unused:UNUSED_PAD src0_sel:DWORD src1_sel:WORD_1
	v_fma_f16 v66, v55, v66, v56
	ds_read2_b32 v[55:56], v33 offset0:58 offset1:139
	;; [unrolled: 26-line block ×3, first 2 shown]
	s_waitcnt lgkmcnt(1)
	v_lshrrev_b32_e32 v100, 16, v57
	s_waitcnt vmcnt(0)
	v_mul_f16_sdwa v101, v57, v61 dst_sel:DWORD dst_unused:UNUSED_PAD src0_sel:DWORD src1_sel:WORD_1
	v_fma_f16 v101, v100, v61, v101
	v_mul_f16_sdwa v100, v100, v61 dst_sel:DWORD dst_unused:UNUSED_PAD src0_sel:DWORD src1_sel:WORD_1
	v_fma_f16 v57, v57, v61, -v100
	s_waitcnt lgkmcnt(0)
	v_lshrrev_b32_e32 v61, 16, v41
	v_mul_f16_sdwa v100, v41, v62 dst_sel:DWORD dst_unused:UNUSED_PAD src0_sel:DWORD src1_sel:WORD_1
	v_fma_f16 v100, v61, v62, v100
	v_mul_f16_sdwa v61, v61, v62 dst_sel:DWORD dst_unused:UNUSED_PAD src0_sel:DWORD src1_sel:WORD_1
	v_fma_f16 v61, v41, v62, -v61
	v_lshrrev_b32_e32 v41, 16, v58
	v_mul_f16_sdwa v62, v41, v71 dst_sel:DWORD dst_unused:UNUSED_PAD src0_sel:DWORD src1_sel:WORD_1
	v_fma_f16 v62, v58, v71, -v62
	v_mul_f16_sdwa v58, v58, v71 dst_sel:DWORD dst_unused:UNUSED_PAD src0_sel:DWORD src1_sel:WORD_1
	v_fma_f16 v58, v41, v71, v58
	v_lshrrev_b32_e32 v41, 16, v42
	v_mul_f16_sdwa v71, v41, v72 dst_sel:DWORD dst_unused:UNUSED_PAD src0_sel:DWORD src1_sel:WORD_1
	v_fma_f16 v71, v42, v72, -v71
	v_mul_f16_sdwa v42, v42, v72 dst_sel:DWORD dst_unused:UNUSED_PAD src0_sel:DWORD src1_sel:WORD_1
	v_fma_f16 v72, v41, v72, v42
	v_lshrrev_b32_e32 v41, 16, v73
	v_add_f16_e32 v42, v41, v38
	v_add_f16_e32 v38, v38, v76
	;; [unrolled: 1-line block ×3, first 2 shown]
	v_fma_f16 v76, v38, -0.5, v41
	v_add_f16_e32 v38, v22, v77
	v_fma_f16 v103, v38, -0.5, v73
	v_add_f16_e32 v38, v73, v22
	v_sub_f16_e32 v73, v22, v77
	v_mov_b32_e32 v22, 2
	v_add_f16_e32 v38, v38, v77
	v_lshlrev_b32_sdwa v21, v22, v21 dst_sel:DWORD dst_unused:UNUSED_PAD src0_sel:DWORD src1_sel:BYTE_0
	v_add3_u32 v20, 0, v20, v21
	v_pack_b32_f16 v21, v38, v42
	v_fma_f16 v38, v102, s4, v103
	v_fma_f16 v41, v73, s5, v76
	v_pack_b32_f16 v77, v38, v41
	v_mad_i32_i24 v41, v17, s6, v15
	v_mad_i32_i24 v42, v4, s6, v11
	v_lshl_add_u32 v38, v6, 2, 0
	ds_read_b32 v104, v41
	ds_read_b32 v105, v42
	;; [unrolled: 1-line block ×3, first 2 shown]
	s_waitcnt lgkmcnt(0)
	s_barrier
	ds_write2_b32 v20, v21, v77 offset1:10
	v_fma_f16 v21, v102, s5, v103
	v_fma_f16 v73, v73, s4, v76
	v_pack_b32_f16 v21, v21, v73
	ds_write_b32 v20, v21 offset:80
	v_lshrrev_b32_e32 v20, 16, v105
	v_add_f16_e32 v76, v81, v85
	v_add_f16_e32 v21, v20, v81
	v_fma_f16 v20, v76, -0.5, v20
	v_add_f16_e32 v76, v80, v84
	v_add_f16_e32 v77, v105, v80
	;; [unrolled: 1-line block ×3, first 2 shown]
	v_sub_f16_e32 v73, v81, v85
	v_fma_f16 v76, v76, -0.5, v105
	v_add_f16_e32 v77, v77, v84
	v_sub_f16_e32 v80, v80, v84
	v_lshlrev_b32_sdwa v44, v22, v44 dst_sel:DWORD dst_unused:UNUSED_PAD src0_sel:DWORD src1_sel:BYTE_0
	v_add3_u32 v43, 0, v43, v44
	v_pack_b32_f16 v21, v77, v21
	v_fma_f16 v44, v73, s4, v76
	v_fma_f16 v77, v80, s5, v20
	v_pack_b32_f16 v44, v44, v77
	ds_write2_b32 v43, v21, v44 offset1:10
	v_fma_f16 v21, v73, s5, v76
	v_fma_f16 v20, v80, s4, v20
	v_pack_b32_f16 v20, v21, v20
	ds_write_b32 v43, v20 offset:80
	v_lshrrev_b32_e32 v20, 16, v104
	v_add_f16_e32 v44, v89, v88
	v_add_f16_e32 v21, v20, v89
	v_fma_f16 v20, v44, -0.5, v20
	v_add_f16_e32 v44, v67, v90
	v_add_f16_e32 v73, v104, v67
	;; [unrolled: 1-line block ×3, first 2 shown]
	v_sub_f16_e32 v43, v89, v88
	v_fma_f16 v44, v44, -0.5, v104
	v_add_f16_e32 v73, v73, v90
	v_sub_f16_e32 v67, v67, v90
	v_lshlrev_b32_sdwa v25, v22, v25 dst_sel:DWORD dst_unused:UNUSED_PAD src0_sel:DWORD src1_sel:BYTE_0
	v_add3_u32 v24, 0, v24, v25
	v_pack_b32_f16 v21, v73, v21
	v_fma_f16 v25, v43, s4, v44
	v_fma_f16 v73, v67, s5, v20
	v_pack_b32_f16 v25, v25, v73
	ds_write2_b32 v24, v21, v25 offset1:10
	v_fma_f16 v21, v43, s5, v44
	v_fma_f16 v20, v67, s4, v20
	v_pack_b32_f16 v20, v21, v20
	ds_write_b32 v24, v20 offset:80
	v_lshrrev_b32_e32 v20, 16, v54
	v_add_f16_e32 v25, v59, v60
	v_add_f16_e32 v21, v20, v59
	v_fma_f16 v20, v25, -0.5, v20
	v_add_f16_e32 v25, v91, v68
	v_add_f16_e32 v43, v54, v91
	;; [unrolled: 1-line block ×3, first 2 shown]
	v_sub_f16_e32 v24, v59, v60
	v_fma_f16 v25, v25, -0.5, v54
	v_add_f16_e32 v43, v43, v68
	v_sub_f16_e32 v44, v91, v68
	v_pack_b32_f16 v19, v43, v21
	v_fma_f16 v21, v24, s4, v25
	v_fma_f16 v43, v44, s5, v20
	v_pack_b32_f16 v21, v21, v43
	ds_write2_b32 v18, v19, v21 offset1:10
	v_fma_f16 v19, v24, s5, v25
	v_fma_f16 v20, v44, s4, v20
	v_pack_b32_f16 v19, v19, v20
	ds_write_b32 v18, v19 offset:80
	v_lshrrev_b32_e32 v18, 16, v53
	v_add_f16_e32 v21, v93, v92
	v_add_f16_e32 v19, v18, v93
	v_fma_f16 v18, v21, -0.5, v18
	v_add_f16_e32 v21, v63, v64
	v_add_f16_e32 v24, v53, v63
	v_add_f16_e32 v19, v19, v92
	v_sub_f16_e32 v20, v93, v92
	v_fma_f16 v21, v21, -0.5, v53
	v_add_f16_e32 v24, v24, v64
	v_sub_f16_e32 v25, v63, v64
	v_mul_u32_u24_e32 v43, 0x78, v47
	v_lshlrev_b32_e32 v44, 2, v48
	v_add3_u32 v43, 0, v43, v44
	v_pack_b32_f16 v19, v24, v19
	v_fma_f16 v24, v20, s4, v21
	v_fma_f16 v44, v25, s5, v18
	v_pack_b32_f16 v24, v24, v44
	ds_write2_b32 v43, v19, v24 offset1:10
	v_fma_f16 v19, v20, s5, v21
	v_fma_f16 v18, v25, s4, v18
	v_pack_b32_f16 v18, v19, v18
	ds_write_b32 v43, v18 offset:80
	v_lshrrev_b32_e32 v18, 16, v50
	v_add_f16_e32 v21, v65, v66
	v_add_f16_e32 v19, v18, v65
	v_fma_f16 v18, v21, -0.5, v18
	v_add_f16_e32 v21, v94, v95
	v_add_f16_e32 v24, v50, v94
	v_add_f16_e32 v19, v19, v66
	v_sub_f16_e32 v20, v65, v66
	v_fma_f16 v21, v21, -0.5, v50
	v_add_f16_e32 v24, v24, v95
	v_sub_f16_e32 v25, v94, v95
	v_mul_u32_u24_e32 v43, 0x78, v51
	v_lshlrev_b32_e32 v44, 2, v52
	v_add3_u32 v43, 0, v43, v44
	v_pack_b32_f16 v19, v24, v19
	v_fma_f16 v24, v20, s4, v21
	v_fma_f16 v44, v25, s5, v18
	v_pack_b32_f16 v24, v24, v44
	ds_write2_b32 v43, v19, v24 offset1:10
	v_fma_f16 v19, v20, s5, v21
	v_fma_f16 v18, v25, s4, v18
	v_pack_b32_f16 v18, v19, v18
	ds_write_b32 v43, v18 offset:80
	v_lshrrev_b32_e32 v18, 16, v49
	v_add_f16_e32 v21, v97, v96
	v_add_f16_e32 v19, v18, v97
	v_fma_f16 v18, v21, -0.5, v18
	v_add_f16_e32 v21, v69, v55
	v_add_f16_e32 v24, v49, v69
	v_add_f16_e32 v19, v19, v96
	v_sub_f16_e32 v20, v97, v96
	v_fma_f16 v21, v21, -0.5, v49
	v_add_f16_e32 v24, v24, v55
	v_sub_f16_e32 v25, v69, v55
	v_mul_u32_u24_e32 v43, 0x78, v74
	v_lshlrev_b32_e32 v44, 2, v75
	v_add3_u32 v43, 0, v43, v44
	v_pack_b32_f16 v19, v24, v19
	v_fma_f16 v24, v20, s4, v21
	v_fma_f16 v44, v25, s5, v18
	v_pack_b32_f16 v24, v24, v44
	ds_write2_b32 v43, v19, v24 offset1:10
	v_fma_f16 v19, v20, s5, v21
	v_fma_f16 v18, v25, s4, v18
	v_pack_b32_f16 v18, v19, v18
	ds_write_b32 v43, v18 offset:80
	v_lshrrev_b32_e32 v18, 16, v46
	v_add_f16_e32 v21, v98, v56
	v_add_f16_e32 v19, v18, v98
	v_fma_f16 v18, v21, -0.5, v18
	v_add_f16_e32 v21, v70, v99
	v_add_f16_e32 v24, v46, v70
	v_add_f16_e32 v19, v19, v56
	v_sub_f16_e32 v20, v98, v56
	v_fma_f16 v21, v21, -0.5, v46
	v_add_f16_e32 v24, v24, v99
	v_sub_f16_e32 v25, v70, v99
	v_mul_u32_u24_e32 v43, 0x78, v78
	v_lshlrev_b32_e32 v44, 2, v79
	v_add3_u32 v43, 0, v43, v44
	v_pack_b32_f16 v19, v24, v19
	v_fma_f16 v24, v20, s4, v21
	v_fma_f16 v44, v25, s5, v18
	v_pack_b32_f16 v24, v24, v44
	ds_write2_b32 v43, v19, v24 offset1:10
	v_fma_f16 v19, v20, s5, v21
	v_fma_f16 v18, v25, s4, v18
	v_pack_b32_f16 v18, v19, v18
	ds_write_b32 v43, v18 offset:80
	v_lshrrev_b32_e32 v18, 16, v45
	v_add_f16_e32 v21, v101, v100
	v_add_f16_e32 v19, v18, v101
	v_fma_f16 v18, v21, -0.5, v18
	v_add_f16_e32 v21, v57, v61
	v_add_f16_e32 v24, v45, v57
	v_add_f16_e32 v19, v19, v100
	v_sub_f16_e32 v20, v101, v100
	v_fma_f16 v21, v21, -0.5, v45
	v_add_f16_e32 v24, v24, v61
	v_sub_f16_e32 v25, v57, v61
	v_mul_u32_u24_e32 v43, 0x78, v82
	v_lshlrev_b32_e32 v44, 2, v83
	v_add3_u32 v43, 0, v43, v44
	v_pack_b32_f16 v19, v24, v19
	v_fma_f16 v24, v20, s4, v21
	v_fma_f16 v44, v25, s5, v18
	v_pack_b32_f16 v24, v24, v44
	ds_write2_b32 v43, v19, v24 offset1:10
	v_fma_f16 v19, v20, s5, v21
	v_fma_f16 v18, v25, s4, v18
	v_pack_b32_f16 v18, v19, v18
	ds_write_b32 v43, v18 offset:80
	v_lshrrev_b32_e32 v18, 16, v106
	v_add_f16_e32 v21, v58, v72
	v_add_f16_e32 v19, v18, v58
	v_fma_f16 v18, v21, -0.5, v18
	v_add_f16_e32 v21, v62, v71
	v_add_f16_e32 v24, v106, v62
	v_add_f16_e32 v19, v19, v72
	v_sub_f16_e32 v20, v58, v72
	v_fma_f16 v21, v21, -0.5, v106
	v_add_f16_e32 v24, v24, v71
	v_sub_f16_e32 v25, v62, v71
	v_mul_u32_u24_e32 v43, 0x78, v86
	v_lshlrev_b32_e32 v44, 2, v87
	v_add3_u32 v43, 0, v43, v44
	v_pack_b32_f16 v19, v24, v19
	v_fma_f16 v24, v20, s4, v21
	v_fma_f16 v44, v25, s5, v18
	v_pack_b32_f16 v24, v24, v44
	ds_write2_b32 v43, v19, v24 offset1:10
	v_fma_f16 v19, v20, s5, v21
	v_fma_f16 v18, v25, s4, v18
	v_pack_b32_f16 v18, v19, v18
	s_movk_i32 s6, 0x89
	ds_write_b32 v43, v18 offset:80
	v_mul_lo_u16_sdwa v18, v0, s6 dst_sel:DWORD dst_unused:UNUSED_PAD src0_sel:BYTE_0 src1_sel:DWORD
	v_lshrrev_b16_e32 v18, 12, v18
	v_mul_lo_u16_e32 v19, 30, v18
	v_sub_u16_e32 v19, v0, v19
	v_lshlrev_b32_sdwa v20, v23, v19 dst_sel:DWORD dst_unused:UNUSED_PAD src0_sel:DWORD src1_sel:BYTE_0
	s_waitcnt lgkmcnt(0)
	s_barrier
	global_load_dwordx2 v[48:49], v20, s[8:9] offset:80
	v_mul_lo_u16_sdwa v20, v4, s6 dst_sel:DWORD dst_unused:UNUSED_PAD src0_sel:BYTE_0 src1_sel:DWORD
	v_lshrrev_b16_e32 v43, 12, v20
	v_mul_lo_u16_e32 v20, 30, v43
	v_sub_u16_e32 v44, v4, v20
	v_lshlrev_b32_sdwa v20, v23, v44 dst_sel:DWORD dst_unused:UNUSED_PAD src0_sel:DWORD src1_sel:BYTE_0
	global_load_dwordx2 v[57:58], v20, s[8:9] offset:80
	v_mul_lo_u16_sdwa v20, v17, s6 dst_sel:DWORD dst_unused:UNUSED_PAD src0_sel:BYTE_0 src1_sel:DWORD
	v_lshrrev_b16_e32 v24, 12, v20
	v_mul_lo_u16_e32 v20, 30, v24
	v_sub_u16_e32 v25, v17, v20
	v_lshlrev_b32_sdwa v20, v23, v25 dst_sel:DWORD dst_unused:UNUSED_PAD src0_sel:DWORD src1_sel:BYTE_0
	s_mov_b32 s6, 0x8889
	global_load_dwordx2 v[59:60], v20, s[8:9] offset:80
	v_mul_u32_u24_sdwa v20, v8, s6 dst_sel:DWORD dst_unused:UNUSED_PAD src0_sel:WORD_0 src1_sel:DWORD
	ds_read2_b32 v[61:62], v40 offset0:42 offset1:123
	v_lshrrev_b32_e32 v20, 20, v20
	v_mul_lo_u16_e32 v21, 30, v20
	ds_read2_b32 v[65:66], v39 offset0:84 offset1:165
	v_sub_u16_e32 v21, v8, v21
	v_lshlrev_b32_e32 v45, 3, v21
	global_load_dwordx2 v[63:64], v45, s[8:9] offset:80
	s_waitcnt lgkmcnt(1)
	v_lshrrev_b32_e32 v45, 16, v61
	v_mul_u32_u24_sdwa v75, v6, s6 dst_sel:DWORD dst_unused:UNUSED_PAD src0_sel:WORD_0 src1_sel:DWORD
	v_lshrrev_b32_e32 v90, 20, v75
	v_mul_lo_u16_e32 v75, 30, v90
	v_sub_u16_e32 v91, v6, v75
	v_lshlrev_b32_e32 v75, 3, v91
	v_mul_u32_u24_e32 v18, 0x168, v18
	v_lshlrev_b32_sdwa v19, v22, v19 dst_sel:DWORD dst_unused:UNUSED_PAD src0_sel:DWORD src1_sel:BYTE_0
	v_add3_u32 v18, 0, v18, v19
	v_mul_u32_u24_e32 v43, 0x168, v43
	v_lshlrev_b32_sdwa v44, v22, v44 dst_sel:DWORD dst_unused:UNUSED_PAD src0_sel:DWORD src1_sel:BYTE_0
	v_add3_u32 v43, 0, v43, v44
	;; [unrolled: 3-line block ×3, first 2 shown]
	v_mul_u32_u24_e32 v20, 0x168, v20
	v_lshlrev_b32_e32 v21, 2, v21
	v_add3_u32 v20, 0, v20, v21
	s_waitcnt vmcnt(3)
	v_mul_f16_sdwa v46, v48, v61 dst_sel:DWORD dst_unused:UNUSED_PAD src0_sel:WORD_1 src1_sel:DWORD
	v_fma_f16 v77, v48, v45, v46
	v_mul_f16_sdwa v45, v48, v45 dst_sel:DWORD dst_unused:UNUSED_PAD src0_sel:WORD_1 src1_sel:DWORD
	v_fma_f16 v78, v48, v61, -v45
	s_waitcnt lgkmcnt(0)
	v_lshrrev_b32_e32 v45, 16, v65
	v_mul_f16_sdwa v48, v49, v65 dst_sel:DWORD dst_unused:UNUSED_PAD src0_sel:WORD_1 src1_sel:DWORD
	v_fma_f16 v79, v49, v45, v48
	v_mul_f16_sdwa v45, v49, v45 dst_sel:DWORD dst_unused:UNUSED_PAD src0_sel:WORD_1 src1_sel:DWORD
	v_mul_u32_u24_sdwa v46, v10, s6 dst_sel:DWORD dst_unused:UNUSED_PAD src0_sel:WORD_0 src1_sel:DWORD
	v_fma_f16 v80, v49, v65, -v45
	v_mul_u32_u24_sdwa v45, v14, s6 dst_sel:DWORD dst_unused:UNUSED_PAD src0_sel:WORD_0 src1_sel:DWORD
	v_lshrrev_b32_e32 v46, 20, v46
	v_lshrrev_b32_e32 v51, 20, v45
	v_mul_lo_u16_e32 v47, 30, v46
	v_mul_lo_u16_e32 v45, 30, v51
	v_sub_u16_e32 v47, v10, v47
	v_sub_u16_e32 v52, v14, v45
	v_lshlrev_b32_e32 v50, 3, v47
	v_lshlrev_b32_e32 v45, 3, v52
	global_load_dwordx2 v[67:68], v50, s[8:9] offset:80
	global_load_dwordx2 v[71:72], v45, s[8:9] offset:80
	v_mul_u32_u24_sdwa v50, v12, s6 dst_sel:DWORD dst_unused:UNUSED_PAD src0_sel:WORD_0 src1_sel:DWORD
	v_lshrrev_b32_e32 v54, 20, v50
	v_mul_lo_u16_e32 v50, 30, v54
	v_sub_u16_e32 v55, v12, v50
	v_lshlrev_b32_e32 v50, 3, v55
	global_load_dwordx2 v[69:70], v50, s[8:9] offset:80
	v_mul_u32_u24_sdwa v49, v16, s6 dst_sel:DWORD dst_unused:UNUSED_PAD src0_sel:WORD_0 src1_sel:DWORD
	v_lshrrev_b32_e32 v49, 20, v49
	v_mul_lo_u16_e32 v50, 30, v49
	v_sub_u16_e32 v50, v16, v50
	v_lshlrev_b32_e32 v65, 3, v50
	ds_read_u16 v61, v26 offset:3566
	ds_read_b32 v81, v32
	ds_read_b32 v82, v31
	;; [unrolled: 1-line block ×6, first 2 shown]
	global_load_dwordx2 v[73:74], v65, s[8:9] offset:80
	s_waitcnt vmcnt(6) lgkmcnt(6)
	v_mul_f16_sdwa v65, v61, v57 dst_sel:DWORD dst_unused:UNUSED_PAD src0_sel:DWORD src1_sel:WORD_1
	v_fma_f16 v84, v57, v62, -v65
	v_mul_f16_sdwa v62, v57, v62 dst_sel:DWORD dst_unused:UNUSED_PAD src0_sel:WORD_1 src1_sel:DWORD
	v_fma_f16 v85, v61, v57, v62
	v_mul_u32_u24_sdwa v61, v7, s6 dst_sel:DWORD dst_unused:UNUSED_PAD src0_sel:WORD_0 src1_sel:DWORD
	v_lshrrev_b32_e32 v86, 20, v61
	v_mul_lo_u16_e32 v61, 30, v86
	v_sub_u16_e32 v87, v7, v61
	v_lshlrev_b32_e32 v61, 3, v87
	global_load_dwordx2 v[61:62], v61, s[8:9] offset:80
	v_lshrrev_b32_e32 v57, 16, v66
	global_load_dwordx2 v[75:76], v75, s[8:9] offset:80
	v_mul_f16_sdwa v65, v57, v58 dst_sel:DWORD dst_unused:UNUSED_PAD src0_sel:DWORD src1_sel:WORD_1
	v_fma_f16 v88, v66, v58, -v65
	v_mul_f16_sdwa v89, v66, v58 dst_sel:DWORD dst_unused:UNUSED_PAD src0_sel:DWORD src1_sel:WORD_1
	ds_read2_b32 v[65:66], v13 offset0:76 offset1:157
	v_fma_f16 v89, v57, v58, v89
	ds_read2_b32 v[57:58], v37 offset0:118 offset1:199
	ds_read_b32 v83, v26
	v_sub_f16_e32 v106, v77, v79
	s_waitcnt lgkmcnt(2)
	v_lshrrev_b32_e32 v92, 16, v65
	s_waitcnt vmcnt(7)
	v_mul_f16_sdwa v93, v65, v59 dst_sel:DWORD dst_unused:UNUSED_PAD src0_sel:DWORD src1_sel:WORD_1
	v_fma_f16 v93, v92, v59, v93
	v_mul_f16_sdwa v92, v92, v59 dst_sel:DWORD dst_unused:UNUSED_PAD src0_sel:DWORD src1_sel:WORD_1
	v_fma_f16 v65, v65, v59, -v92
	s_waitcnt lgkmcnt(1)
	v_lshrrev_b32_e32 v59, 16, v57
	v_mul_f16_sdwa v92, v57, v60 dst_sel:DWORD dst_unused:UNUSED_PAD src0_sel:DWORD src1_sel:WORD_1
	v_fma_f16 v92, v59, v60, v92
	v_mul_f16_sdwa v59, v59, v60 dst_sel:DWORD dst_unused:UNUSED_PAD src0_sel:DWORD src1_sel:WORD_1
	v_fma_f16 v94, v57, v60, -v59
	v_lshrrev_b32_e32 v57, 16, v66
	s_waitcnt vmcnt(6)
	v_mul_f16_sdwa v59, v57, v63 dst_sel:DWORD dst_unused:UNUSED_PAD src0_sel:DWORD src1_sel:WORD_1
	v_fma_f16 v95, v66, v63, -v59
	v_mul_f16_sdwa v59, v66, v63 dst_sel:DWORD dst_unused:UNUSED_PAD src0_sel:DWORD src1_sel:WORD_1
	v_fma_f16 v63, v57, v63, v59
	v_lshrrev_b32_e32 v57, 16, v58
	ds_read2_b32 v[59:60], v34 offset0:110 offset1:191
	v_mul_f16_sdwa v66, v57, v64 dst_sel:DWORD dst_unused:UNUSED_PAD src0_sel:DWORD src1_sel:WORD_1
	v_fma_f16 v66, v58, v64, -v66
	v_mul_f16_sdwa v58, v58, v64 dst_sel:DWORD dst_unused:UNUSED_PAD src0_sel:DWORD src1_sel:WORD_1
	v_fma_f16 v64, v57, v64, v58
	ds_read2_b32 v[57:58], v9 offset0:152 offset1:233
	s_waitcnt lgkmcnt(1)
	v_lshrrev_b32_e32 v96, 16, v59
	s_movk_i32 s6, 0xb7
	s_waitcnt vmcnt(5)
	v_mul_f16_sdwa v97, v59, v67 dst_sel:DWORD dst_unused:UNUSED_PAD src0_sel:DWORD src1_sel:WORD_1
	v_fma_f16 v97, v96, v67, v97
	v_mul_f16_sdwa v96, v96, v67 dst_sel:DWORD dst_unused:UNUSED_PAD src0_sel:DWORD src1_sel:WORD_1
	v_fma_f16 v67, v59, v67, -v96
	s_waitcnt lgkmcnt(0)
	v_lshrrev_b32_e32 v59, 16, v57
	v_mul_f16_sdwa v96, v57, v68 dst_sel:DWORD dst_unused:UNUSED_PAD src0_sel:DWORD src1_sel:WORD_1
	v_fma_f16 v96, v59, v68, v96
	v_mul_f16_sdwa v59, v59, v68 dst_sel:DWORD dst_unused:UNUSED_PAD src0_sel:DWORD src1_sel:WORD_1
	v_fma_f16 v68, v57, v68, -v59
	v_lshrrev_b32_e32 v57, 16, v60
	s_waitcnt vmcnt(3)
	v_mul_f16_sdwa v59, v57, v69 dst_sel:DWORD dst_unused:UNUSED_PAD src0_sel:DWORD src1_sel:WORD_1
	v_fma_f16 v98, v60, v69, -v59
	v_mul_f16_sdwa v59, v60, v69 dst_sel:DWORD dst_unused:UNUSED_PAD src0_sel:DWORD src1_sel:WORD_1
	v_fma_f16 v69, v57, v69, v59
	v_lshrrev_b32_e32 v57, 16, v58
	ds_read2_b32 v[59:60], v36 offset0:16 offset1:97
	v_mul_f16_sdwa v99, v57, v70 dst_sel:DWORD dst_unused:UNUSED_PAD src0_sel:DWORD src1_sel:WORD_1
	v_fma_f16 v99, v58, v70, -v99
	v_mul_f16_sdwa v58, v58, v70 dst_sel:DWORD dst_unused:UNUSED_PAD src0_sel:DWORD src1_sel:WORD_1
	v_fma_f16 v70, v57, v70, v58
	ds_read2_b32 v[57:58], v33 offset0:58 offset1:139
	s_waitcnt lgkmcnt(1)
	v_lshrrev_b32_e32 v100, 16, v59
	v_mul_f16_sdwa v101, v59, v71 dst_sel:DWORD dst_unused:UNUSED_PAD src0_sel:DWORD src1_sel:WORD_1
	v_fma_f16 v101, v100, v71, v101
	v_mul_f16_sdwa v100, v100, v71 dst_sel:DWORD dst_unused:UNUSED_PAD src0_sel:DWORD src1_sel:WORD_1
	v_fma_f16 v71, v59, v71, -v100
	s_waitcnt lgkmcnt(0)
	v_lshrrev_b32_e32 v59, 16, v57
	v_mul_f16_sdwa v100, v57, v72 dst_sel:DWORD dst_unused:UNUSED_PAD src0_sel:DWORD src1_sel:WORD_1
	v_fma_f16 v100, v59, v72, v100
	v_mul_f16_sdwa v59, v59, v72 dst_sel:DWORD dst_unused:UNUSED_PAD src0_sel:DWORD src1_sel:WORD_1
	v_fma_f16 v72, v57, v72, -v59
	v_lshrrev_b32_e32 v57, 16, v60
	s_waitcnt vmcnt(2)
	v_mul_f16_sdwa v59, v57, v73 dst_sel:DWORD dst_unused:UNUSED_PAD src0_sel:DWORD src1_sel:WORD_1
	v_fma_f16 v102, v60, v73, -v59
	v_mul_f16_sdwa v59, v60, v73 dst_sel:DWORD dst_unused:UNUSED_PAD src0_sel:DWORD src1_sel:WORD_1
	v_fma_f16 v73, v57, v73, v59
	v_lshrrev_b32_e32 v57, 16, v58
	ds_read2_b32 v[59:60], v5 offset0:50 offset1:131
	v_mul_f16_sdwa v103, v57, v74 dst_sel:DWORD dst_unused:UNUSED_PAD src0_sel:DWORD src1_sel:WORD_1
	v_fma_f16 v103, v58, v74, -v103
	v_mul_f16_sdwa v58, v58, v74 dst_sel:DWORD dst_unused:UNUSED_PAD src0_sel:DWORD src1_sel:WORD_1
	v_fma_f16 v74, v57, v74, v58
	ds_read2_b32 v[57:58], v35 offset0:92 offset1:173
	s_waitcnt lgkmcnt(1)
	v_lshrrev_b32_e32 v104, 16, v59
	s_waitcnt vmcnt(1)
	v_mul_f16_sdwa v105, v59, v61 dst_sel:DWORD dst_unused:UNUSED_PAD src0_sel:DWORD src1_sel:WORD_1
	v_fma_f16 v105, v104, v61, v105
	v_mul_f16_sdwa v104, v104, v61 dst_sel:DWORD dst_unused:UNUSED_PAD src0_sel:DWORD src1_sel:WORD_1
	v_fma_f16 v59, v59, v61, -v104
	s_waitcnt lgkmcnt(0)
	v_lshrrev_b32_e32 v61, 16, v57
	v_mul_f16_sdwa v104, v57, v62 dst_sel:DWORD dst_unused:UNUSED_PAD src0_sel:DWORD src1_sel:WORD_1
	v_fma_f16 v104, v61, v62, v104
	v_mul_f16_sdwa v61, v61, v62 dst_sel:DWORD dst_unused:UNUSED_PAD src0_sel:DWORD src1_sel:WORD_1
	v_fma_f16 v57, v57, v62, -v61
	v_lshrrev_b32_e32 v61, 16, v60
	s_waitcnt vmcnt(0)
	v_mul_f16_sdwa v62, v61, v75 dst_sel:DWORD dst_unused:UNUSED_PAD src0_sel:DWORD src1_sel:WORD_1
	v_fma_f16 v62, v60, v75, -v62
	v_mul_f16_sdwa v60, v60, v75 dst_sel:DWORD dst_unused:UNUSED_PAD src0_sel:DWORD src1_sel:WORD_1
	v_fma_f16 v60, v61, v75, v60
	v_lshrrev_b32_e32 v61, 16, v58
	v_mul_f16_sdwa v75, v61, v76 dst_sel:DWORD dst_unused:UNUSED_PAD src0_sel:DWORD src1_sel:WORD_1
	v_fma_f16 v75, v58, v76, -v75
	v_mul_f16_sdwa v58, v58, v76 dst_sel:DWORD dst_unused:UNUSED_PAD src0_sel:DWORD src1_sel:WORD_1
	v_fma_f16 v58, v61, v76, v58
	v_lshrrev_b32_e32 v61, 16, v83
	v_add_f16_e32 v76, v61, v77
	v_add_f16_e32 v77, v77, v79
	;; [unrolled: 1-line block ×3, first 2 shown]
	v_fma_f16 v61, v77, -0.5, v61
	v_add_f16_e32 v77, v78, v80
	v_add_f16_e32 v79, v83, v78
	v_fma_f16 v77, v77, -0.5, v83
	v_add_f16_e32 v79, v79, v80
	v_sub_f16_e32 v78, v78, v80
	v_pack_b32_f16 v19, v79, v76
	v_fma_f16 v76, v106, s4, v77
	v_fma_f16 v79, v78, s5, v61
	v_pack_b32_f16 v76, v76, v79
	ds_read_b32 v79, v41
	ds_read_b32 v80, v42
	;; [unrolled: 1-line block ×3, first 2 shown]
	s_waitcnt lgkmcnt(0)
	s_barrier
	ds_write2_b32 v18, v19, v76 offset1:30
	v_fma_f16 v19, v106, s5, v77
	v_fma_f16 v61, v78, s4, v61
	v_pack_b32_f16 v19, v19, v61
	ds_write_b32 v18, v19 offset:240
	v_lshrrev_b32_e32 v18, 16, v80
	v_add_f16_e32 v76, v85, v89
	v_add_f16_e32 v19, v18, v85
	v_fma_f16 v18, v76, -0.5, v18
	v_add_f16_e32 v76, v84, v88
	v_add_f16_e32 v77, v80, v84
	v_add_f16_e32 v19, v19, v89
	v_sub_f16_e32 v61, v85, v89
	v_fma_f16 v76, v76, -0.5, v80
	v_add_f16_e32 v77, v77, v88
	v_sub_f16_e32 v78, v84, v88
	v_pack_b32_f16 v19, v77, v19
	v_fma_f16 v44, v61, s4, v76
	v_fma_f16 v77, v78, s5, v18
	v_pack_b32_f16 v44, v44, v77
	ds_write2_b32 v43, v19, v44 offset1:30
	v_fma_f16 v19, v61, s5, v76
	v_fma_f16 v18, v78, s4, v18
	v_pack_b32_f16 v18, v19, v18
	ds_write_b32 v43, v18 offset:240
	v_lshrrev_b32_e32 v18, 16, v79
	v_add_f16_e32 v44, v93, v92
	v_add_f16_e32 v19, v18, v93
	v_fma_f16 v18, v44, -0.5, v18
	v_add_f16_e32 v44, v65, v94
	v_add_f16_e32 v61, v79, v65
	v_add_f16_e32 v19, v19, v92
	v_sub_f16_e32 v43, v93, v92
	v_fma_f16 v44, v44, -0.5, v79
	v_add_f16_e32 v61, v61, v94
	v_sub_f16_e32 v65, v65, v94
	v_pack_b32_f16 v19, v61, v19
	v_fma_f16 v25, v43, s4, v44
	v_fma_f16 v61, v65, s5, v18
	v_pack_b32_f16 v25, v25, v61
	;; [unrolled: 20-line block ×3, first 2 shown]
	ds_write2_b32 v20, v19, v21 offset1:30
	v_fma_f16 v19, v24, s5, v25
	v_fma_f16 v18, v44, s4, v18
	v_pack_b32_f16 v18, v19, v18
	ds_write_b32 v20, v18 offset:240
	v_lshrrev_b32_e32 v18, 16, v82
	v_add_f16_e32 v21, v97, v96
	v_add_f16_e32 v19, v18, v97
	v_fma_f16 v18, v21, -0.5, v18
	v_add_f16_e32 v21, v67, v68
	v_add_f16_e32 v24, v82, v67
	v_add_f16_e32 v19, v19, v96
	v_sub_f16_e32 v20, v97, v96
	v_fma_f16 v21, v21, -0.5, v82
	v_add_f16_e32 v24, v24, v68
	v_sub_f16_e32 v25, v67, v68
	v_mul_u32_u24_e32 v43, 0x168, v46
	v_lshlrev_b32_e32 v44, 2, v47
	v_add3_u32 v43, 0, v43, v44
	v_pack_b32_f16 v19, v24, v19
	v_fma_f16 v24, v20, s4, v21
	v_fma_f16 v44, v25, s5, v18
	v_pack_b32_f16 v24, v24, v44
	ds_write2_b32 v43, v19, v24 offset1:30
	v_fma_f16 v19, v20, s5, v21
	v_fma_f16 v18, v25, s4, v18
	v_pack_b32_f16 v18, v19, v18
	ds_write_b32 v43, v18 offset:240
	v_lshrrev_b32_e32 v18, 16, v56
	v_add_f16_e32 v21, v69, v70
	v_add_f16_e32 v19, v18, v69
	v_fma_f16 v18, v21, -0.5, v18
	v_add_f16_e32 v21, v98, v99
	v_add_f16_e32 v24, v56, v98
	v_add_f16_e32 v19, v19, v70
	v_sub_f16_e32 v20, v69, v70
	v_fma_f16 v21, v21, -0.5, v56
	v_add_f16_e32 v24, v24, v99
	v_sub_f16_e32 v25, v98, v99
	v_mul_u32_u24_e32 v43, 0x168, v54
	v_lshlrev_b32_e32 v44, 2, v55
	v_add3_u32 v43, 0, v43, v44
	v_pack_b32_f16 v19, v24, v19
	v_fma_f16 v24, v20, s4, v21
	v_fma_f16 v44, v25, s5, v18
	v_pack_b32_f16 v24, v24, v44
	;; [unrolled: 23-line block ×6, first 2 shown]
	ds_write2_b32 v43, v19, v24 offset1:30
	v_mul_lo_u16_sdwa v24, v17, s6 dst_sel:DWORD dst_unused:UNUSED_PAD src0_sel:BYTE_0 src1_sel:DWORD
	v_fma_f16 v18, v25, s4, v18
	v_lshrrev_b16_e32 v25, 14, v24
	v_fma_f16 v19, v20, s5, v21
	v_mul_lo_u16_e32 v24, 0x5a, v25
	v_pack_b32_f16 v18, v19, v18
	v_sub_u16_e32 v44, v17, v24
	s_movk_i32 s6, 0x2d83
	ds_write_b32 v43, v18 offset:240
	v_lshlrev_b32_e32 v18, 1, v0
	v_mov_b32_e32 v19, 0
	v_lshlrev_b32_sdwa v45, v23, v44 dst_sel:DWORD dst_unused:UNUSED_PAD src0_sel:DWORD src1_sel:BYTE_0
	v_mul_u32_u24_sdwa v23, v8, s6 dst_sel:DWORD dst_unused:UNUSED_PAD src0_sel:WORD_0 src1_sel:DWORD
	v_lshlrev_b64 v[20:21], 2, v[18:19]
	v_lshrrev_b32_e32 v23, 20, v23
	v_mul_lo_u16_e32 v24, 0x5a, v23
	v_mov_b32_e32 v43, s9
	v_add_co_u32_e32 v20, vcc, s8, v20
	v_sub_u16_e32 v24, v8, v24
	v_addc_co_u32_e32 v21, vcc, v43, v21, vcc
	s_waitcnt lgkmcnt(0)
	s_barrier
	v_lshlrev_b32_e32 v46, 3, v24
	global_load_dwordx2 v[58:59], v45, s[8:9] offset:320
	global_load_dwordx2 v[60:61], v46, s[8:9] offset:320
	global_load_dwordx2 v[49:50], v[20:21], off offset:320
	v_add_u32_e32 v45, -9, v0
	v_cmp_gt_u32_e32 vcc, 9, v0
	v_cndmask_b32_e32 v45, v45, v4, vcc
	v_lshlrev_b32_e32 v46, 1, v45
	v_mov_b32_e32 v47, v19
	v_lshlrev_b64 v[46:47], 2, v[46:47]
	ds_read2_b32 v[64:65], v40 offset0:42 offset1:123
	v_add_co_u32_e32 v46, vcc, s8, v46
	v_addc_co_u32_e32 v47, vcc, v43, v47, vcc
	global_load_dwordx2 v[62:63], v[46:47], off offset:320
	ds_read2_b32 v[66:67], v39 offset0:84 offset1:165
	s_waitcnt lgkmcnt(1)
	v_lshrrev_b32_e32 v46, 16, v64
	v_mul_u32_u24_sdwa v76, v6, s6 dst_sel:DWORD dst_unused:UNUSED_PAD src0_sel:WORD_0 src1_sel:DWORD
	v_lshrrev_b32_e32 v76, 20, v76
	v_mul_lo_u16_e32 v76, 0x5a, v76
	v_sub_u16_e32 v91, v6, v76
	v_lshlrev_b32_e32 v76, 3, v91
	v_cmp_lt_u32_e32 vcc, 8, v0
	v_lshlrev_b32_e32 v45, 2, v45
	v_lshlrev_b32_sdwa v22, v22, v44 dst_sel:DWORD dst_unused:UNUSED_PAD src0_sel:DWORD src1_sel:BYTE_0
	v_mul_u32_u24_e32 v25, 0x438, v25
	v_add3_u32 v22, 0, v25, v22
	v_mul_u32_u24_e32 v23, 0x438, v23
	v_lshlrev_b32_e32 v24, 2, v24
	v_add3_u32 v23, 0, v23, v24
	s_waitcnt vmcnt(1)
	v_mul_f16_sdwa v47, v49, v64 dst_sel:DWORD dst_unused:UNUSED_PAD src0_sel:WORD_1 src1_sel:DWORD
	v_fma_f16 v78, v49, v46, v47
	v_mul_f16_sdwa v46, v49, v46 dst_sel:DWORD dst_unused:UNUSED_PAD src0_sel:WORD_1 src1_sel:DWORD
	v_fma_f16 v79, v49, v64, -v46
	s_waitcnt lgkmcnt(0)
	v_lshrrev_b32_e32 v46, 16, v66
	v_mul_f16_sdwa v49, v50, v66 dst_sel:DWORD dst_unused:UNUSED_PAD src0_sel:WORD_1 src1_sel:DWORD
	v_fma_f16 v80, v50, v46, v49
	v_mul_f16_sdwa v46, v50, v46 dst_sel:DWORD dst_unused:UNUSED_PAD src0_sel:WORD_1 src1_sel:DWORD
	v_mul_u32_u24_sdwa v47, v10, s6 dst_sel:DWORD dst_unused:UNUSED_PAD src0_sel:WORD_0 src1_sel:DWORD
	v_fma_f16 v81, v50, v66, -v46
	v_mul_u32_u24_sdwa v46, v14, s6 dst_sel:DWORD dst_unused:UNUSED_PAD src0_sel:WORD_0 src1_sel:DWORD
	v_lshrrev_b32_e32 v47, 20, v47
	v_lshrrev_b32_e32 v52, 20, v46
	v_mul_lo_u16_e32 v48, 0x5a, v47
	v_mul_lo_u16_e32 v46, 0x5a, v52
	v_sub_u16_e32 v48, v10, v48
	v_sub_u16_e32 v53, v14, v46
	v_lshlrev_b32_e32 v51, 3, v48
	v_lshlrev_b32_e32 v46, 3, v53
	global_load_dwordx2 v[68:69], v51, s[8:9] offset:320
	global_load_dwordx2 v[72:73], v46, s[8:9] offset:320
	v_mul_u32_u24_sdwa v51, v12, s6 dst_sel:DWORD dst_unused:UNUSED_PAD src0_sel:WORD_0 src1_sel:DWORD
	v_lshrrev_b32_e32 v55, 20, v51
	v_mul_lo_u16_e32 v51, 0x5a, v55
	v_sub_u16_e32 v56, v12, v51
	v_lshlrev_b32_e32 v51, 3, v56
	global_load_dwordx2 v[70:71], v51, s[8:9] offset:320
	v_mul_u32_u24_sdwa v50, v16, s6 dst_sel:DWORD dst_unused:UNUSED_PAD src0_sel:WORD_0 src1_sel:DWORD
	v_lshrrev_b32_e32 v50, 20, v50
	v_mul_lo_u16_e32 v51, 0x5a, v50
	v_sub_u16_e32 v51, v16, v51
	v_lshlrev_b32_e32 v66, 3, v51
	ds_read_u16 v64, v26 offset:3566
	ds_read_b32 v82, v32
	ds_read_b32 v83, v31
	;; [unrolled: 1-line block ×6, first 2 shown]
	global_load_dwordx2 v[74:75], v66, s[8:9] offset:320
	s_waitcnt vmcnt(4) lgkmcnt(6)
	v_mul_f16_sdwa v66, v64, v62 dst_sel:DWORD dst_unused:UNUSED_PAD src0_sel:DWORD src1_sel:WORD_1
	v_fma_f16 v85, v62, v65, -v66
	v_mul_f16_sdwa v65, v62, v65 dst_sel:DWORD dst_unused:UNUSED_PAD src0_sel:WORD_1 src1_sel:DWORD
	v_fma_f16 v86, v64, v62, v65
	v_mul_u32_u24_sdwa v64, v7, s6 dst_sel:DWORD dst_unused:UNUSED_PAD src0_sel:WORD_0 src1_sel:DWORD
	v_lshrrev_b32_e32 v87, 20, v64
	v_mul_lo_u16_e32 v64, 0x5a, v87
	v_sub_u16_e32 v88, v7, v64
	v_lshlrev_b32_e32 v64, 3, v88
	global_load_dwordx2 v[64:65], v64, s[8:9] offset:320
	v_lshrrev_b32_e32 v62, 16, v67
	global_load_dwordx2 v[76:77], v76, s[8:9] offset:320
	v_mul_f16_sdwa v66, v62, v63 dst_sel:DWORD dst_unused:UNUSED_PAD src0_sel:DWORD src1_sel:WORD_1
	v_fma_f16 v89, v67, v63, -v66
	v_mul_f16_sdwa v90, v67, v63 dst_sel:DWORD dst_unused:UNUSED_PAD src0_sel:DWORD src1_sel:WORD_1
	ds_read2_b32 v[66:67], v13 offset0:76 offset1:157
	v_fma_f16 v90, v62, v63, v90
	ds_read2_b32 v[62:63], v37 offset0:118 offset1:199
	ds_read_b32 v84, v26
	v_sub_f16_e32 v106, v78, v80
	s_waitcnt lgkmcnt(2)
	v_lshrrev_b32_e32 v92, 16, v66
	v_mul_f16_sdwa v93, v66, v58 dst_sel:DWORD dst_unused:UNUSED_PAD src0_sel:DWORD src1_sel:WORD_1
	v_fma_f16 v93, v92, v58, v93
	v_mul_f16_sdwa v92, v92, v58 dst_sel:DWORD dst_unused:UNUSED_PAD src0_sel:DWORD src1_sel:WORD_1
	v_fma_f16 v66, v66, v58, -v92
	s_waitcnt lgkmcnt(1)
	v_lshrrev_b32_e32 v58, 16, v62
	v_mul_f16_sdwa v92, v62, v59 dst_sel:DWORD dst_unused:UNUSED_PAD src0_sel:DWORD src1_sel:WORD_1
	v_fma_f16 v92, v58, v59, v92
	v_mul_f16_sdwa v58, v58, v59 dst_sel:DWORD dst_unused:UNUSED_PAD src0_sel:DWORD src1_sel:WORD_1
	v_fma_f16 v62, v62, v59, -v58
	v_lshrrev_b32_e32 v58, 16, v67
	v_mul_f16_sdwa v59, v58, v60 dst_sel:DWORD dst_unused:UNUSED_PAD src0_sel:DWORD src1_sel:WORD_1
	v_fma_f16 v94, v67, v60, -v59
	v_mul_f16_sdwa v59, v67, v60 dst_sel:DWORD dst_unused:UNUSED_PAD src0_sel:DWORD src1_sel:WORD_1
	v_fma_f16 v67, v58, v60, v59
	v_lshrrev_b32_e32 v60, 16, v63
	ds_read2_b32 v[58:59], v34 offset0:110 offset1:191
	v_mul_f16_sdwa v95, v60, v61 dst_sel:DWORD dst_unused:UNUSED_PAD src0_sel:DWORD src1_sel:WORD_1
	v_fma_f16 v95, v63, v61, -v95
	v_mul_f16_sdwa v63, v63, v61 dst_sel:DWORD dst_unused:UNUSED_PAD src0_sel:DWORD src1_sel:WORD_1
	v_fma_f16 v63, v60, v61, v63
	ds_read2_b32 v[60:61], v9 offset0:152 offset1:233
	s_waitcnt lgkmcnt(1)
	v_lshrrev_b32_e32 v96, 16, v58
	v_mul_u32_u24_e32 v47, 0x438, v47
	v_lshlrev_b32_e32 v48, 2, v48
	v_add3_u32 v47, 0, v47, v48
	s_movk_i32 s6, 0x795d
	s_waitcnt vmcnt(5)
	v_mul_f16_sdwa v97, v58, v68 dst_sel:DWORD dst_unused:UNUSED_PAD src0_sel:DWORD src1_sel:WORD_1
	v_fma_f16 v97, v96, v68, v97
	v_mul_f16_sdwa v96, v96, v68 dst_sel:DWORD dst_unused:UNUSED_PAD src0_sel:DWORD src1_sel:WORD_1
	v_fma_f16 v68, v58, v68, -v96
	s_waitcnt lgkmcnt(0)
	v_lshrrev_b32_e32 v58, 16, v60
	v_mul_f16_sdwa v96, v60, v69 dst_sel:DWORD dst_unused:UNUSED_PAD src0_sel:DWORD src1_sel:WORD_1
	v_fma_f16 v96, v58, v69, v96
	v_mul_f16_sdwa v58, v58, v69 dst_sel:DWORD dst_unused:UNUSED_PAD src0_sel:DWORD src1_sel:WORD_1
	v_fma_f16 v69, v60, v69, -v58
	v_lshrrev_b32_e32 v58, 16, v59
	s_waitcnt vmcnt(3)
	v_mul_f16_sdwa v60, v58, v70 dst_sel:DWORD dst_unused:UNUSED_PAD src0_sel:DWORD src1_sel:WORD_1
	v_fma_f16 v98, v59, v70, -v60
	v_mul_f16_sdwa v59, v59, v70 dst_sel:DWORD dst_unused:UNUSED_PAD src0_sel:DWORD src1_sel:WORD_1
	v_lshrrev_b32_e32 v60, 16, v61
	v_fma_f16 v70, v58, v70, v59
	ds_read2_b32 v[58:59], v36 offset0:16 offset1:97
	v_mul_f16_sdwa v99, v60, v71 dst_sel:DWORD dst_unused:UNUSED_PAD src0_sel:DWORD src1_sel:WORD_1
	v_fma_f16 v99, v61, v71, -v99
	v_mul_f16_sdwa v61, v61, v71 dst_sel:DWORD dst_unused:UNUSED_PAD src0_sel:DWORD src1_sel:WORD_1
	v_fma_f16 v71, v60, v71, v61
	ds_read2_b32 v[60:61], v33 offset0:58 offset1:139
	s_waitcnt lgkmcnt(1)
	v_lshrrev_b32_e32 v100, 16, v58
	v_mul_f16_sdwa v101, v58, v72 dst_sel:DWORD dst_unused:UNUSED_PAD src0_sel:DWORD src1_sel:WORD_1
	v_fma_f16 v101, v100, v72, v101
	v_mul_f16_sdwa v100, v100, v72 dst_sel:DWORD dst_unused:UNUSED_PAD src0_sel:DWORD src1_sel:WORD_1
	v_fma_f16 v72, v58, v72, -v100
	s_waitcnt lgkmcnt(0)
	v_lshrrev_b32_e32 v58, 16, v60
	v_mul_f16_sdwa v100, v60, v73 dst_sel:DWORD dst_unused:UNUSED_PAD src0_sel:DWORD src1_sel:WORD_1
	v_fma_f16 v100, v58, v73, v100
	v_mul_f16_sdwa v58, v58, v73 dst_sel:DWORD dst_unused:UNUSED_PAD src0_sel:DWORD src1_sel:WORD_1
	v_fma_f16 v73, v60, v73, -v58
	v_lshrrev_b32_e32 v58, 16, v59
	s_waitcnt vmcnt(2)
	v_mul_f16_sdwa v60, v58, v74 dst_sel:DWORD dst_unused:UNUSED_PAD src0_sel:DWORD src1_sel:WORD_1
	v_fma_f16 v102, v59, v74, -v60
	v_mul_f16_sdwa v59, v59, v74 dst_sel:DWORD dst_unused:UNUSED_PAD src0_sel:DWORD src1_sel:WORD_1
	v_lshrrev_b32_e32 v60, 16, v61
	v_fma_f16 v74, v58, v74, v59
	ds_read2_b32 v[58:59], v5 offset0:50 offset1:131
	v_mul_f16_sdwa v103, v60, v75 dst_sel:DWORD dst_unused:UNUSED_PAD src0_sel:DWORD src1_sel:WORD_1
	v_fma_f16 v103, v61, v75, -v103
	v_mul_f16_sdwa v61, v61, v75 dst_sel:DWORD dst_unused:UNUSED_PAD src0_sel:DWORD src1_sel:WORD_1
	v_fma_f16 v75, v60, v75, v61
	ds_read2_b32 v[60:61], v35 offset0:92 offset1:173
	s_waitcnt lgkmcnt(1)
	v_lshrrev_b32_e32 v104, 16, v58
	s_waitcnt vmcnt(1)
	v_mul_f16_sdwa v105, v58, v64 dst_sel:DWORD dst_unused:UNUSED_PAD src0_sel:DWORD src1_sel:WORD_1
	v_fma_f16 v105, v104, v64, v105
	v_mul_f16_sdwa v104, v104, v64 dst_sel:DWORD dst_unused:UNUSED_PAD src0_sel:DWORD src1_sel:WORD_1
	v_fma_f16 v58, v58, v64, -v104
	s_waitcnt lgkmcnt(0)
	v_lshrrev_b32_e32 v64, 16, v60
	v_mul_f16_sdwa v104, v60, v65 dst_sel:DWORD dst_unused:UNUSED_PAD src0_sel:DWORD src1_sel:WORD_1
	v_fma_f16 v104, v64, v65, v104
	v_mul_f16_sdwa v64, v64, v65 dst_sel:DWORD dst_unused:UNUSED_PAD src0_sel:DWORD src1_sel:WORD_1
	v_fma_f16 v60, v60, v65, -v64
	v_lshrrev_b32_e32 v64, 16, v59
	s_waitcnt vmcnt(0)
	v_mul_f16_sdwa v65, v64, v76 dst_sel:DWORD dst_unused:UNUSED_PAD src0_sel:DWORD src1_sel:WORD_1
	v_fma_f16 v65, v59, v76, -v65
	v_mul_f16_sdwa v59, v59, v76 dst_sel:DWORD dst_unused:UNUSED_PAD src0_sel:DWORD src1_sel:WORD_1
	v_fma_f16 v59, v64, v76, v59
	v_lshrrev_b32_e32 v64, 16, v61
	v_mul_f16_sdwa v76, v64, v77 dst_sel:DWORD dst_unused:UNUSED_PAD src0_sel:DWORD src1_sel:WORD_1
	v_fma_f16 v76, v61, v77, -v76
	v_mul_f16_sdwa v61, v61, v77 dst_sel:DWORD dst_unused:UNUSED_PAD src0_sel:DWORD src1_sel:WORD_1
	v_fma_f16 v61, v64, v77, v61
	v_lshrrev_b32_e32 v64, 16, v84
	v_add_f16_e32 v77, v64, v78
	v_add_f16_e32 v78, v78, v80
	v_add_f16_e32 v77, v77, v80
	v_fma_f16 v64, v78, -0.5, v64
	v_add_f16_e32 v78, v79, v81
	v_add_f16_e32 v80, v84, v79
	v_fma_f16 v78, v78, -0.5, v84
	v_add_f16_e32 v80, v80, v81
	v_sub_f16_e32 v79, v79, v81
	v_pack_b32_f16 v77, v80, v77
	v_fma_f16 v80, v106, s4, v78
	v_fma_f16 v81, v79, s5, v64
	v_pack_b32_f16 v80, v80, v81
	ds_read_b32 v81, v41
	ds_read_b32 v84, v42
	;; [unrolled: 1-line block ×3, first 2 shown]
	s_waitcnt lgkmcnt(0)
	s_barrier
	ds_write2_b32 v26, v77, v80 offset1:90
	v_fma_f16 v77, v106, s5, v78
	v_lshrrev_b32_e32 v78, 16, v84
	v_fma_f16 v64, v79, s4, v64
	v_add_f16_e32 v79, v78, v86
	v_sub_f16_e32 v80, v86, v90
	v_add_f16_e32 v86, v86, v90
	v_fma_f16 v78, v86, -0.5, v78
	v_add_f16_e32 v86, v85, v89
	v_pack_b32_f16 v64, v77, v64
	v_fma_f16 v86, v86, -0.5, v84
	v_add_f16_e32 v84, v84, v85
	ds_write_b32 v26, v64 offset:720
	v_mov_b32_e32 v64, 0x438
	v_add_f16_e32 v79, v79, v90
	v_add_f16_e32 v84, v84, v89
	v_sub_f16_e32 v85, v85, v89
	v_cndmask_b32_e32 v64, 0, v64, vcc
	v_add3_u32 v45, 0, v64, v45
	v_pack_b32_f16 v64, v84, v79
	v_fma_f16 v77, v80, s4, v86
	v_fma_f16 v79, v85, s5, v78
	v_pack_b32_f16 v77, v77, v79
	ds_write2_b32 v45, v64, v77 offset1:90
	v_fma_f16 v64, v80, s5, v86
	v_fma_f16 v77, v85, s4, v78
	v_pack_b32_f16 v64, v64, v77
	ds_write_b32 v45, v64 offset:720
	v_lshrrev_b32_e32 v45, 16, v81
	v_add_f16_e32 v78, v93, v92
	v_add_f16_e32 v64, v45, v93
	v_fma_f16 v45, v78, -0.5, v45
	v_add_f16_e32 v78, v66, v62
	v_add_f16_e32 v79, v81, v66
	v_add_f16_e32 v64, v64, v92
	v_sub_f16_e32 v77, v93, v92
	v_fma_f16 v78, v78, -0.5, v81
	v_add_f16_e32 v79, v79, v62
	v_sub_f16_e32 v62, v66, v62
	v_pack_b32_f16 v25, v79, v64
	v_fma_f16 v44, v77, s4, v78
	v_fma_f16 v64, v62, s5, v45
	v_pack_b32_f16 v44, v44, v64
	ds_write2_b32 v22, v25, v44 offset1:90
	v_fma_f16 v25, v77, s5, v78
	v_fma_f16 v44, v62, s4, v45
	v_pack_b32_f16 v25, v25, v44
	ds_write_b32 v22, v25 offset:720
	v_lshrrev_b32_e32 v22, 16, v82
	v_add_f16_e32 v45, v67, v63
	v_add_f16_e32 v25, v22, v67
	v_fma_f16 v22, v45, -0.5, v22
	v_add_f16_e32 v45, v94, v95
	v_add_f16_e32 v62, v82, v94
	v_add_f16_e32 v25, v25, v63
	v_sub_f16_e32 v44, v67, v63
	v_fma_f16 v45, v45, -0.5, v82
	v_add_f16_e32 v62, v62, v95
	v_sub_f16_e32 v63, v94, v95
	;; [unrolled: 20-line block ×4, first 2 shown]
	v_mul_u32_u24_e32 v47, 0x438, v55
	v_lshlrev_b32_e32 v48, 2, v56
	v_add3_u32 v47, 0, v47, v48
	v_pack_b32_f16 v23, v44, v23
	v_fma_f16 v44, v24, s4, v25
	v_fma_f16 v48, v45, s5, v22
	v_pack_b32_f16 v44, v44, v48
	ds_write2_b32 v47, v23, v44 offset1:90
	v_fma_f16 v23, v24, s5, v25
	v_fma_f16 v22, v45, s4, v22
	v_pack_b32_f16 v22, v23, v22
	ds_write_b32 v47, v22 offset:720
	v_lshrrev_b32_e32 v22, 16, v54
	v_add_f16_e32 v25, v101, v100
	v_add_f16_e32 v23, v22, v101
	v_fma_f16 v22, v25, -0.5, v22
	v_add_f16_e32 v25, v72, v73
	v_add_f16_e32 v44, v54, v72
	v_add_f16_e32 v23, v23, v100
	v_sub_f16_e32 v24, v101, v100
	v_fma_f16 v25, v25, -0.5, v54
	v_add_f16_e32 v44, v44, v73
	v_sub_f16_e32 v45, v72, v73
	v_mul_u32_u24_e32 v47, 0x438, v52
	v_lshlrev_b32_e32 v48, 2, v53
	v_add3_u32 v47, 0, v47, v48
	v_pack_b32_f16 v23, v44, v23
	v_fma_f16 v44, v24, s4, v25
	v_fma_f16 v48, v45, s5, v22
	v_pack_b32_f16 v44, v44, v48
	ds_write2_b32 v47, v23, v44 offset1:90
	v_fma_f16 v23, v24, s5, v25
	v_fma_f16 v22, v45, s4, v22
	v_pack_b32_f16 v22, v23, v22
	ds_write_b32 v47, v22 offset:720
	v_lshrrev_b32_e32 v22, 16, v49
	v_add_f16_e32 v25, v74, v75
	v_add_f16_e32 v23, v22, v74
	v_fma_f16 v22, v25, -0.5, v22
	v_add_f16_e32 v25, v102, v103
	v_add_f16_e32 v44, v49, v102
	v_add_f16_e32 v23, v23, v75
	v_sub_f16_e32 v24, v74, v75
	v_fma_f16 v25, v25, -0.5, v49
	v_add_f16_e32 v44, v44, v103
	v_sub_f16_e32 v45, v102, v103
	;; [unrolled: 23-line block ×4, first 2 shown]
	v_pack_b32_f16 v23, v44, v23
	v_fma_f16 v44, v24, s4, v25
	v_fma_f16 v46, v45, s5, v22
	v_pack_b32_f16 v44, v44, v46
	v_lshl_add_u32 v46, v91, 2, 0
	v_add_u32_e32 v47, 0x2000, v46
	ds_write2_b32 v47, v23, v44 offset0:112 offset1:202
	v_fma_f16 v23, v24, s5, v25
	v_fma_f16 v22, v45, s4, v22
	v_pack_b32_f16 v22, v23, v22
	ds_write_b32 v46, v22 offset:9360
	s_waitcnt lgkmcnt(0)
	s_barrier
	global_load_dwordx2 v[45:46], v[20:21], off offset:1040
	v_lshlrev_b32_e32 v22, 1, v4
	v_mov_b32_e32 v23, v19
	v_lshlrev_b64 v[22:23], 2, v[22:23]
	v_lshlrev_b32_e32 v24, 1, v17
	v_add_co_u32_e32 v22, vcc, s8, v22
	v_addc_co_u32_e32 v23, vcc, v43, v23, vcc
	global_load_dwordx2 v[50:51], v[22:23], off offset:1040
	v_mov_b32_e32 v25, v19
	v_lshlrev_b64 v[24:25], 2, v[24:25]
	v_subrev_u32_e32 v44, 27, v0
	v_add_co_u32_e32 v24, vcc, s8, v24
	v_addc_co_u32_e32 v25, vcc, v43, v25, vcc
	v_cmp_gt_u32_e32 vcc, 27, v0
	v_cndmask_b32_e32 v44, v44, v8, vcc
	v_lshlrev_b32_e32 v47, 1, v44
	global_load_dwordx2 v[52:53], v[24:25], off offset:1040
	v_mov_b32_e32 v48, v19
	v_lshlrev_b64 v[47:48], 2, v[47:48]
	ds_read2_b32 v[54:55], v40 offset0:42 offset1:123
	v_add_co_u32_e32 v47, vcc, s8, v47
	v_addc_co_u32_e32 v48, vcc, v43, v48, vcc
	global_load_dwordx2 v[56:57], v[47:48], off offset:1040
	s_waitcnt lgkmcnt(0)
	v_lshrrev_b32_e32 v47, 16, v54
	ds_read2_b32 v[58:59], v39 offset0:84 offset1:165
	v_mul_u32_u24_sdwa v68, v6, s6 dst_sel:DWORD dst_unused:UNUSED_PAD src0_sel:WORD_0 src1_sel:DWORD
	v_lshrrev_b32_e32 v68, 23, v68
	v_mul_lo_u16_e32 v68, 0x10e, v68
	v_sub_u16_e32 v83, v6, v68
	v_lshlrev_b32_e32 v68, 3, v83
	v_lshlrev_b32_e32 v44, 2, v44
	s_waitcnt vmcnt(3)
	v_mul_f16_sdwa v48, v45, v54 dst_sel:DWORD dst_unused:UNUSED_PAD src0_sel:WORD_1 src1_sel:DWORD
	v_fma_f16 v70, v45, v47, v48
	v_mul_f16_sdwa v47, v45, v47 dst_sel:DWORD dst_unused:UNUSED_PAD src0_sel:WORD_1 src1_sel:DWORD
	v_fma_f16 v71, v45, v54, -v47
	v_add_u32_e32 v47, 0x6c, v18
	v_mov_b32_e32 v48, v19
	v_lshlrev_b64 v[47:48], 2, v[47:48]
	s_waitcnt lgkmcnt(0)
	v_lshrrev_b32_e32 v45, 16, v58
	v_add_co_u32_e32 v47, vcc, s8, v47
	v_addc_co_u32_e32 v48, vcc, v43, v48, vcc
	global_load_dwordx2 v[60:61], v[47:48], off offset:1040
	v_mul_f16_sdwa v47, v46, v58 dst_sel:DWORD dst_unused:UNUSED_PAD src0_sel:WORD_1 src1_sel:DWORD
	v_add_u32_e32 v18, 0x10e, v18
	v_fma_f16 v72, v46, v45, v47
	v_lshlrev_b64 v[47:48], 2, v[18:19]
	v_mul_f16_sdwa v18, v46, v45 dst_sel:DWORD dst_unused:UNUSED_PAD src0_sel:WORD_1 src1_sel:DWORD
	v_add_co_u32_e32 v47, vcc, s8, v47
	v_addc_co_u32_e32 v48, vcc, v43, v48, vcc
	global_load_dwordx2 v[62:63], v[47:48], off offset:1040
	v_fma_f16 v73, v46, v58, -v18
	v_mul_u32_u24_sdwa v18, v14, s6 dst_sel:DWORD dst_unused:UNUSED_PAD src0_sel:WORD_0 src1_sel:DWORD
	v_lshrrev_b32_e32 v47, 23, v18
	v_mul_lo_u16_e32 v18, 0x10e, v47
	v_sub_u16_e32 v48, v14, v18
	v_lshlrev_b32_e32 v18, 3, v48
	global_load_dwordx2 v[64:65], v18, s[8:9] offset:1040
	v_mul_u32_u24_sdwa v45, v16, s6 dst_sel:DWORD dst_unused:UNUSED_PAD src0_sel:WORD_0 src1_sel:DWORD
	v_lshrrev_b32_e32 v45, 23, v45
	v_mul_lo_u16_e32 v45, 0x10e, v45
	v_sub_u16_e32 v45, v16, v45
	v_lshlrev_b32_e32 v58, 3, v45
	ds_read_u16 v54, v26 offset:3566
	ds_read_b32 v74, v32
	ds_read_b32 v75, v31
	;; [unrolled: 1-line block ×6, first 2 shown]
	global_load_dwordx2 v[66:67], v58, s[8:9] offset:1040
	s_waitcnt vmcnt(6) lgkmcnt(6)
	v_mul_f16_sdwa v58, v54, v50 dst_sel:DWORD dst_unused:UNUSED_PAD src0_sel:DWORD src1_sel:WORD_1
	v_fma_f16 v78, v50, v55, -v58
	v_mul_f16_sdwa v55, v50, v55 dst_sel:DWORD dst_unused:UNUSED_PAD src0_sel:WORD_1 src1_sel:DWORD
	v_fma_f16 v79, v54, v50, v55
	v_mul_u32_u24_sdwa v54, v7, s6 dst_sel:DWORD dst_unused:UNUSED_PAD src0_sel:WORD_0 src1_sel:DWORD
	v_lshrrev_b32_e32 v54, 23, v54
	v_mul_lo_u16_e32 v54, 0x10e, v54
	v_sub_u16_e32 v80, v7, v54
	v_lshlrev_b32_e32 v54, 3, v80
	global_load_dwordx2 v[54:55], v54, s[8:9] offset:1040
	v_lshrrev_b32_e32 v50, 16, v59
	global_load_dwordx2 v[68:69], v68, s[8:9] offset:1040
	v_mul_f16_sdwa v58, v50, v51 dst_sel:DWORD dst_unused:UNUSED_PAD src0_sel:DWORD src1_sel:WORD_1
	v_fma_f16 v81, v59, v51, -v58
	v_mul_f16_sdwa v82, v59, v51 dst_sel:DWORD dst_unused:UNUSED_PAD src0_sel:DWORD src1_sel:WORD_1
	ds_read2_b32 v[58:59], v13 offset0:76 offset1:157
	v_fma_f16 v82, v50, v51, v82
	ds_read2_b32 v[50:51], v37 offset0:118 offset1:199
	ds_read_b32 v77, v26
	v_add_f16_e32 v100, v78, v81
	s_waitcnt lgkmcnt(2)
	v_lshrrev_b32_e32 v84, 16, v58
	s_waitcnt vmcnt(7)
	v_mul_f16_sdwa v85, v58, v52 dst_sel:DWORD dst_unused:UNUSED_PAD src0_sel:DWORD src1_sel:WORD_1
	v_fma_f16 v85, v84, v52, v85
	v_mul_f16_sdwa v84, v84, v52 dst_sel:DWORD dst_unused:UNUSED_PAD src0_sel:DWORD src1_sel:WORD_1
	v_fma_f16 v58, v58, v52, -v84
	s_waitcnt lgkmcnt(1)
	v_lshrrev_b32_e32 v52, 16, v50
	v_mul_f16_sdwa v84, v50, v53 dst_sel:DWORD dst_unused:UNUSED_PAD src0_sel:DWORD src1_sel:WORD_1
	v_fma_f16 v84, v52, v53, v84
	v_mul_f16_sdwa v52, v52, v53 dst_sel:DWORD dst_unused:UNUSED_PAD src0_sel:DWORD src1_sel:WORD_1
	v_fma_f16 v86, v50, v53, -v52
	v_lshrrev_b32_e32 v50, 16, v59
	s_waitcnt vmcnt(6)
	v_mul_f16_sdwa v52, v50, v56 dst_sel:DWORD dst_unused:UNUSED_PAD src0_sel:DWORD src1_sel:WORD_1
	v_fma_f16 v87, v59, v56, -v52
	v_mul_f16_sdwa v52, v59, v56 dst_sel:DWORD dst_unused:UNUSED_PAD src0_sel:DWORD src1_sel:WORD_1
	v_fma_f16 v56, v50, v56, v52
	v_lshrrev_b32_e32 v50, 16, v51
	ds_read2_b32 v[52:53], v34 offset0:110 offset1:191
	v_mul_f16_sdwa v59, v50, v57 dst_sel:DWORD dst_unused:UNUSED_PAD src0_sel:DWORD src1_sel:WORD_1
	v_fma_f16 v59, v51, v57, -v59
	v_mul_f16_sdwa v51, v51, v57 dst_sel:DWORD dst_unused:UNUSED_PAD src0_sel:DWORD src1_sel:WORD_1
	v_fma_f16 v57, v50, v57, v51
	ds_read2_b32 v[50:51], v9 offset0:152 offset1:233
	s_waitcnt lgkmcnt(1)
	v_lshrrev_b32_e32 v88, 16, v52
	v_sub_f16_e32 v101, v79, v82
	v_cmp_lt_u32_e32 vcc, 26, v0
	v_mul_u32_u24_e32 v47, 0xca8, v47
	v_lshlrev_b32_e32 v48, 2, v48
	v_add3_u32 v47, 0, v47, v48
	v_lshl_add_u32 v45, v45, 2, 0
	s_add_u32 s6, s8, 0x25d0
	s_addc_u32 s7, s9, 0
	s_waitcnt vmcnt(5)
	v_mul_f16_sdwa v89, v52, v60 dst_sel:DWORD dst_unused:UNUSED_PAD src0_sel:DWORD src1_sel:WORD_1
	v_fma_f16 v89, v88, v60, v89
	v_mul_f16_sdwa v88, v88, v60 dst_sel:DWORD dst_unused:UNUSED_PAD src0_sel:DWORD src1_sel:WORD_1
	v_fma_f16 v60, v52, v60, -v88
	s_waitcnt lgkmcnt(0)
	v_lshrrev_b32_e32 v52, 16, v50
	v_mul_f16_sdwa v88, v50, v61 dst_sel:DWORD dst_unused:UNUSED_PAD src0_sel:DWORD src1_sel:WORD_1
	v_fma_f16 v88, v52, v61, v88
	v_mul_f16_sdwa v52, v52, v61 dst_sel:DWORD dst_unused:UNUSED_PAD src0_sel:DWORD src1_sel:WORD_1
	v_fma_f16 v61, v50, v61, -v52
	v_lshrrev_b32_e32 v50, 16, v53
	s_waitcnt vmcnt(4)
	v_mul_f16_sdwa v52, v50, v62 dst_sel:DWORD dst_unused:UNUSED_PAD src0_sel:DWORD src1_sel:WORD_1
	v_fma_f16 v90, v53, v62, -v52
	v_mul_f16_sdwa v52, v53, v62 dst_sel:DWORD dst_unused:UNUSED_PAD src0_sel:DWORD src1_sel:WORD_1
	v_fma_f16 v62, v50, v62, v52
	v_lshrrev_b32_e32 v50, 16, v51
	ds_read2_b32 v[52:53], v36 offset0:16 offset1:97
	v_mul_f16_sdwa v91, v50, v63 dst_sel:DWORD dst_unused:UNUSED_PAD src0_sel:DWORD src1_sel:WORD_1
	v_fma_f16 v91, v51, v63, -v91
	v_mul_f16_sdwa v51, v51, v63 dst_sel:DWORD dst_unused:UNUSED_PAD src0_sel:DWORD src1_sel:WORD_1
	v_fma_f16 v63, v50, v63, v51
	ds_read2_b32 v[50:51], v33 offset0:58 offset1:139
	s_waitcnt lgkmcnt(1)
	v_lshrrev_b32_e32 v92, 16, v52
	s_waitcnt vmcnt(3)
	v_mul_f16_sdwa v93, v52, v64 dst_sel:DWORD dst_unused:UNUSED_PAD src0_sel:DWORD src1_sel:WORD_1
	v_fma_f16 v93, v92, v64, v93
	v_mul_f16_sdwa v92, v92, v64 dst_sel:DWORD dst_unused:UNUSED_PAD src0_sel:DWORD src1_sel:WORD_1
	v_fma_f16 v64, v52, v64, -v92
	s_waitcnt lgkmcnt(0)
	v_lshrrev_b32_e32 v52, 16, v50
	v_mul_f16_sdwa v92, v50, v65 dst_sel:DWORD dst_unused:UNUSED_PAD src0_sel:DWORD src1_sel:WORD_1
	v_fma_f16 v92, v52, v65, v92
	v_mul_f16_sdwa v52, v52, v65 dst_sel:DWORD dst_unused:UNUSED_PAD src0_sel:DWORD src1_sel:WORD_1
	v_fma_f16 v65, v50, v65, -v52
	v_lshrrev_b32_e32 v50, 16, v53
	s_waitcnt vmcnt(2)
	v_mul_f16_sdwa v52, v50, v66 dst_sel:DWORD dst_unused:UNUSED_PAD src0_sel:DWORD src1_sel:WORD_1
	v_fma_f16 v94, v53, v66, -v52
	v_mul_f16_sdwa v52, v53, v66 dst_sel:DWORD dst_unused:UNUSED_PAD src0_sel:DWORD src1_sel:WORD_1
	v_fma_f16 v66, v50, v66, v52
	v_lshrrev_b32_e32 v50, 16, v51
	ds_read2_b32 v[52:53], v5 offset0:50 offset1:131
	v_mul_f16_sdwa v95, v50, v67 dst_sel:DWORD dst_unused:UNUSED_PAD src0_sel:DWORD src1_sel:WORD_1
	v_fma_f16 v95, v51, v67, -v95
	v_mul_f16_sdwa v51, v51, v67 dst_sel:DWORD dst_unused:UNUSED_PAD src0_sel:DWORD src1_sel:WORD_1
	v_fma_f16 v67, v50, v67, v51
	ds_read2_b32 v[50:51], v35 offset0:92 offset1:173
	s_waitcnt lgkmcnt(1)
	v_lshrrev_b32_e32 v96, 16, v52
	s_waitcnt vmcnt(1)
	v_mul_f16_sdwa v97, v52, v54 dst_sel:DWORD dst_unused:UNUSED_PAD src0_sel:DWORD src1_sel:WORD_1
	v_fma_f16 v97, v96, v54, v97
	v_mul_f16_sdwa v96, v96, v54 dst_sel:DWORD dst_unused:UNUSED_PAD src0_sel:DWORD src1_sel:WORD_1
	v_fma_f16 v52, v52, v54, -v96
	s_waitcnt lgkmcnt(0)
	v_lshrrev_b32_e32 v54, 16, v50
	v_mul_f16_sdwa v96, v50, v55 dst_sel:DWORD dst_unused:UNUSED_PAD src0_sel:DWORD src1_sel:WORD_1
	v_fma_f16 v96, v54, v55, v96
	v_mul_f16_sdwa v54, v54, v55 dst_sel:DWORD dst_unused:UNUSED_PAD src0_sel:DWORD src1_sel:WORD_1
	v_fma_f16 v50, v50, v55, -v54
	v_lshrrev_b32_e32 v54, 16, v53
	s_waitcnt vmcnt(0)
	v_mul_f16_sdwa v55, v54, v68 dst_sel:DWORD dst_unused:UNUSED_PAD src0_sel:DWORD src1_sel:WORD_1
	v_fma_f16 v55, v53, v68, -v55
	v_mul_f16_sdwa v53, v53, v68 dst_sel:DWORD dst_unused:UNUSED_PAD src0_sel:DWORD src1_sel:WORD_1
	v_fma_f16 v53, v54, v68, v53
	v_lshrrev_b32_e32 v54, 16, v51
	v_mul_f16_sdwa v68, v54, v69 dst_sel:DWORD dst_unused:UNUSED_PAD src0_sel:DWORD src1_sel:WORD_1
	v_fma_f16 v68, v51, v69, -v68
	v_mul_f16_sdwa v51, v51, v69 dst_sel:DWORD dst_unused:UNUSED_PAD src0_sel:DWORD src1_sel:WORD_1
	v_fma_f16 v51, v54, v69, v51
	v_add_f16_e32 v54, v71, v73
	v_fma_f16 v54, v54, -0.5, v77
	v_sub_f16_e32 v69, v70, v72
	v_fma_f16 v98, v69, s4, v54
	v_fma_f16 v54, v69, s5, v54
	v_lshrrev_b32_e32 v69, 16, v77
	v_add_f16_e32 v99, v69, v70
	v_add_f16_e32 v70, v70, v72
	v_fma_f16 v69, v70, -0.5, v69
	v_add_f16_e32 v70, v77, v71
	v_add_f16_e32 v70, v70, v73
	v_sub_f16_e32 v71, v71, v73
	ds_read_b32 v73, v42
	v_add_f16_e32 v99, v99, v72
	v_fma_f16 v72, v71, s5, v69
	v_fma_f16 v69, v71, s4, v69
	ds_read_b32 v71, v41
	ds_read_b32 v77, v38
	s_waitcnt lgkmcnt(2)
	v_fma_f16 v100, v100, -0.5, v73
	v_fma_f16 v102, v101, s4, v100
	v_fma_f16 v100, v101, s5, v100
	v_lshrrev_b32_e32 v101, 16, v73
	v_add_f16_e32 v103, v101, v79
	v_add_f16_e32 v79, v79, v82
	v_fma_f16 v79, v79, -0.5, v101
	v_add_f16_e32 v73, v73, v78
	v_sub_f16_e32 v78, v78, v81
	v_add_f16_e32 v73, v73, v81
	v_fma_f16 v81, v78, s5, v79
	v_fma_f16 v78, v78, s4, v79
	v_add_f16_e32 v79, v58, v86
	v_add_f16_e32 v103, v103, v82
	s_waitcnt lgkmcnt(1)
	v_fma_f16 v79, v79, -0.5, v71
	v_sub_f16_e32 v82, v85, v84
	v_fma_f16 v101, v82, s4, v79
	v_fma_f16 v79, v82, s5, v79
	v_lshrrev_b32_e32 v82, 16, v71
	v_add_f16_e32 v104, v82, v85
	v_add_f16_e32 v104, v104, v84
	;; [unrolled: 1-line block ×3, first 2 shown]
	v_fma_f16 v82, v84, -0.5, v82
	v_add_f16_e32 v71, v71, v58
	v_sub_f16_e32 v58, v58, v86
	v_fma_f16 v84, v58, s5, v82
	v_fma_f16 v58, v58, s4, v82
	v_add_f16_e32 v82, v87, v59
	v_fma_f16 v82, v82, -0.5, v74
	v_sub_f16_e32 v85, v56, v57
	v_add_f16_e32 v71, v71, v86
	v_fma_f16 v86, v85, s4, v82
	v_fma_f16 v82, v85, s5, v82
	v_lshrrev_b32_e32 v85, 16, v74
	v_add_f16_e32 v105, v85, v56
	v_add_f16_e32 v105, v105, v57
	;; [unrolled: 1-line block ×4, first 2 shown]
	v_fma_f16 v56, v56, -0.5, v85
	v_add_f16_e32 v57, v57, v59
	v_sub_f16_e32 v59, v87, v59
	v_fma_f16 v74, v59, s5, v56
	v_fma_f16 v56, v59, s4, v56
	v_pack_b32_f16 v59, v70, v99
	v_pack_b32_f16 v54, v54, v69
	s_waitcnt lgkmcnt(0)
	s_barrier
	ds_write_b32 v26, v59
	v_pack_b32_f16 v59, v98, v72
	ds_write_b32 v26, v54 offset:2160
	v_pack_b32_f16 v54, v73, v103
	ds_write_b32 v26, v59 offset:1080
	ds_write_b32 v42, v54
	v_pack_b32_f16 v54, v102, v81
	ds_write_b32 v42, v54 offset:1080
	v_pack_b32_f16 v54, v100, v78
	ds_write_b32 v42, v54 offset:2160
	v_pack_b32_f16 v54, v71, v104
	ds_write_b32 v41, v54
	v_pack_b32_f16 v54, v101, v84
	ds_write_b32 v41, v54 offset:1080
	v_pack_b32_f16 v54, v79, v58
	ds_write_b32 v41, v54 offset:2160
	v_mov_b32_e32 v54, 0xca8
	v_cndmask_b32_e32 v54, 0, v54, vcc
	v_add3_u32 v44, 0, v54, v44
	v_pack_b32_f16 v54, v57, v105
	ds_write_b32 v44, v54
	v_pack_b32_f16 v54, v86, v74
	ds_write_b32 v44, v54 offset:1080
	v_pack_b32_f16 v54, v82, v56
	ds_write_b32 v44, v54 offset:2160
	v_lshrrev_b32_e32 v54, 16, v75
	v_add_f16_e32 v44, v75, v60
	v_add_f16_e32 v56, v54, v89
	;; [unrolled: 1-line block ×4, first 2 shown]
	v_lshrrev_b32_e32 v57, 16, v76
	v_pack_b32_f16 v44, v44, v56
	v_add_f16_e32 v56, v76, v90
	v_add_f16_e32 v58, v57, v62
	v_add_f16_e32 v56, v56, v91
	v_add_f16_e32 v58, v58, v63
	v_pack_b32_f16 v56, v56, v58
	v_add_f16_e32 v58, v89, v88
	ds_write2_b32 v40, v44, v56 offset0:96 offset1:177
	v_add_f16_e32 v44, v60, v61
	v_fma_f16 v54, v58, -0.5, v54
	v_sub_f16_e32 v58, v60, v61
	v_add_f16_e32 v59, v90, v91
	v_add_f16_e32 v61, v62, v63
	v_fma_f16 v44, v44, -0.5, v75
	v_sub_f16_e32 v56, v89, v88
	v_fma_f16 v59, v59, -0.5, v76
	v_sub_f16_e32 v60, v62, v63
	;; [unrolled: 2-line block ×3, first 2 shown]
	v_fma_f16 v62, v56, s4, v44
	v_fma_f16 v63, v58, s5, v54
	;; [unrolled: 1-line block ×7, first 2 shown]
	v_pack_b32_f16 v44, v44, v54
	v_pack_b32_f16 v54, v56, v57
	ds_write2_b32 v36, v44, v54 offset0:124 offset1:205
	v_add_f16_e32 v44, v64, v65
	v_fma_f16 v44, v44, -0.5, v49
	v_sub_f16_e32 v54, v93, v92
	v_fma_f16 v56, v54, s4, v44
	v_fma_f16 v44, v54, s5, v44
	v_lshrrev_b32_e32 v54, 16, v49
	v_add_f16_e32 v58, v93, v92
	v_add_f16_e32 v57, v54, v93
	v_fma_f16 v54, v58, -0.5, v54
	v_add_f16_e32 v49, v49, v64
	v_sub_f16_e32 v58, v64, v65
	v_pack_b32_f16 v62, v62, v63
	v_fma_f16 v63, v60, s4, v59
	v_add_f16_e32 v57, v57, v92
	v_add_f16_e32 v49, v49, v65
	v_fma_f16 v59, v58, s5, v54
	v_fma_f16 v54, v58, s4, v54
	v_pack_b32_f16 v63, v63, v69
	v_pack_b32_f16 v48, v49, v57
	;; [unrolled: 1-line block ×3, first 2 shown]
	ds_write2_b32 v34, v62, v63 offset0:110 offset1:191
	ds_write_b32 v47, v48
	v_pack_b32_f16 v48, v56, v59
	ds_write_b32 v47, v44 offset:2160
	v_add_f16_e32 v44, v94, v95
	ds_write_b32 v47, v48 offset:1080
	v_fma_f16 v44, v44, -0.5, v46
	v_sub_f16_e32 v47, v66, v67
	v_fma_f16 v48, v47, s4, v44
	v_fma_f16 v44, v47, s5, v44
	v_lshrrev_b32_e32 v47, 16, v46
	v_add_f16_e32 v54, v66, v67
	v_add_f16_e32 v49, v47, v66
	v_fma_f16 v47, v54, -0.5, v47
	v_add_f16_e32 v46, v46, v94
	v_sub_f16_e32 v54, v94, v95
	v_add_f16_e32 v49, v49, v67
	v_add_f16_e32 v46, v46, v95
	v_fma_f16 v56, v54, s5, v47
	v_fma_f16 v47, v54, s4, v47
	v_pack_b32_f16 v46, v46, v49
	v_pack_b32_f16 v44, v44, v47
	ds_write_b32 v45, v46 offset:6480
	v_pack_b32_f16 v46, v48, v56
	ds_write_b32 v45, v44 offset:8640
	v_add_f16_e32 v44, v52, v50
	ds_write_b32 v45, v46 offset:7560
	v_fma_f16 v44, v44, -0.5, v18
	v_sub_f16_e32 v45, v97, v96
	v_fma_f16 v46, v45, s4, v44
	v_fma_f16 v44, v45, s5, v44
	v_lshrrev_b32_e32 v45, 16, v18
	v_add_f16_e32 v47, v45, v97
	v_add_f16_e32 v48, v97, v96
	;; [unrolled: 1-line block ×4, first 2 shown]
	v_fma_f16 v45, v48, -0.5, v45
	v_add_f16_e32 v18, v18, v50
	v_sub_f16_e32 v48, v52, v50
	v_fma_f16 v49, v48, s5, v45
	v_pack_b32_f16 v18, v18, v47
	v_lshl_add_u32 v47, v80, 2, 0
	v_fma_f16 v45, v48, s4, v45
	ds_write_b32 v47, v18 offset:6480
	v_pack_b32_f16 v18, v46, v49
	ds_write_b32 v47, v18 offset:7560
	v_pack_b32_f16 v18, v44, v45
	ds_write_b32 v47, v18 offset:8640
	v_add_f16_e32 v18, v55, v68
	v_fma_f16 v18, v18, -0.5, v77
	v_sub_f16_e32 v44, v53, v51
	v_fma_f16 v45, v44, s4, v18
	v_fma_f16 v18, v44, s5, v18
	v_lshrrev_b32_e32 v44, 16, v77
	v_add_f16_e32 v47, v53, v51
	v_add_f16_e32 v46, v44, v53
	v_fma_f16 v44, v47, -0.5, v44
	v_add_f16_e32 v47, v77, v55
	v_sub_f16_e32 v48, v55, v68
	v_add_f16_e32 v46, v46, v51
	v_add_f16_e32 v47, v47, v68
	v_fma_f16 v49, v48, s5, v44
	v_fma_f16 v44, v48, s4, v44
	v_pack_b32_f16 v46, v47, v46
	v_lshl_add_u32 v47, v83, 2, 0
	v_pack_b32_f16 v45, v45, v49
	v_pack_b32_f16 v18, v18, v44
	ds_write_b32 v47, v46 offset:6480
	ds_write_b32 v47, v45 offset:7560
	;; [unrolled: 1-line block ×3, first 2 shown]
	s_waitcnt lgkmcnt(0)
	s_barrier
	global_load_dwordx2 v[44:45], v[20:21], off offset:3200
	global_load_dwordx2 v[46:47], v[22:23], off offset:3200
	v_lshlrev_b32_e32 v18, 1, v8
	v_lshlrev_b64 v[20:21], 2, v[18:19]
	global_load_dwordx2 v[48:49], v[24:25], off offset:3200
	v_add_co_u32_e32 v20, vcc, s8, v20
	v_addc_co_u32_e32 v21, vcc, v43, v21, vcc
	global_load_dwordx2 v[50:51], v[20:21], off offset:3200
	ds_read2_b32 v[24:25], v40 offset0:42 offset1:123
	ds_read2_b32 v[39:40], v39 offset0:84 offset1:165
	s_waitcnt lgkmcnt(1)
	v_lshrrev_b32_e32 v18, 16, v24
	s_waitcnt lgkmcnt(0)
	v_lshrrev_b32_e32 v22, 16, v39
	s_waitcnt vmcnt(3)
	v_mul_f16_sdwa v20, v44, v24 dst_sel:DWORD dst_unused:UNUSED_PAD src0_sel:WORD_1 src1_sel:DWORD
	v_fma_f16 v62, v44, v18, v20
	v_mul_f16_sdwa v18, v44, v18 dst_sel:DWORD dst_unused:UNUSED_PAD src0_sel:WORD_1 src1_sel:DWORD
	v_fma_f16 v63, v44, v24, -v18
	v_mul_f16_sdwa v18, v45, v39 dst_sel:DWORD dst_unused:UNUSED_PAD src0_sel:WORD_1 src1_sel:DWORD
	v_fma_f16 v64, v45, v22, v18
	v_lshlrev_b32_e32 v18, 1, v10
	v_lshlrev_b64 v[20:21], 2, v[18:19]
	v_mul_f16_sdwa v18, v45, v22 dst_sel:DWORD dst_unused:UNUSED_PAD src0_sel:WORD_1 src1_sel:DWORD
	v_add_co_u32_e32 v20, vcc, s8, v20
	v_addc_co_u32_e32 v21, vcc, v43, v21, vcc
	global_load_dwordx2 v[52:53], v[20:21], off offset:3200
	v_fma_f16 v65, v45, v39, -v18
	v_lshlrev_b32_e32 v18, 1, v12
	v_lshlrev_b64 v[20:21], 2, v[18:19]
	v_lshlrev_b32_e32 v18, 1, v14
	v_add_co_u32_e32 v20, vcc, s8, v20
	v_addc_co_u32_e32 v21, vcc, v43, v21, vcc
	global_load_dwordx2 v[44:45], v[20:21], off offset:3200
	v_lshlrev_b64 v[20:21], 2, v[18:19]
	v_lshlrev_b32_e32 v18, 1, v16
	v_add_co_u32_e32 v20, vcc, s8, v20
	v_addc_co_u32_e32 v21, vcc, v43, v21, vcc
	global_load_dwordx2 v[54:55], v[20:21], off offset:3200
	v_lshlrev_b64 v[56:57], 2, v[18:19]
	ds_read_u16 v39, v26 offset:3566
	ds_read_b32 v66, v32
	ds_read_b32 v24, v31
	;; [unrolled: 1-line block ×7, first 2 shown]
	v_add_co_u32_e32 v56, vcc, s8, v56
	v_addc_co_u32_e32 v57, vcc, v43, v57, vcc
	global_load_dwordx2 v[56:57], v[56:57], off offset:3200
	s_waitcnt vmcnt(6) lgkmcnt(7)
	v_mul_f16_sdwa v58, v39, v46 dst_sel:DWORD dst_unused:UNUSED_PAD src0_sel:DWORD src1_sel:WORD_1
	v_mul_f16_sdwa v18, v46, v25 dst_sel:DWORD dst_unused:UNUSED_PAD src0_sel:WORD_1 src1_sel:DWORD
	v_fma_f16 v68, v46, v25, -v58
	v_fma_f16 v25, v39, v46, v18
	v_lshlrev_b32_e32 v18, 1, v7
	v_lshlrev_b64 v[58:59], 2, v[18:19]
	v_lshlrev_b32_e32 v18, 1, v6
	v_add_co_u32_e32 v58, vcc, s8, v58
	v_addc_co_u32_e32 v59, vcc, v43, v59, vcc
	global_load_dwordx2 v[58:59], v[58:59], off offset:3200
	v_lshlrev_b64 v[60:61], 2, v[18:19]
	v_lshrrev_b32_e32 v46, 16, v40
	v_add_co_u32_e32 v60, vcc, s8, v60
	v_addc_co_u32_e32 v61, vcc, v43, v61, vcc
	global_load_dwordx2 v[60:61], v[60:61], off offset:3200
	v_mul_f16_sdwa v39, v46, v47 dst_sel:DWORD dst_unused:UNUSED_PAD src0_sel:DWORD src1_sel:WORD_1
	v_fma_f16 v69, v40, v47, -v39
	v_mul_f16_sdwa v70, v40, v47 dst_sel:DWORD dst_unused:UNUSED_PAD src0_sel:DWORD src1_sel:WORD_1
	ds_read2_b32 v[39:40], v13 offset0:76 offset1:157
	v_fma_f16 v13, v46, v47, v70
	ds_read2_b32 v[46:47], v37 offset0:118 offset1:199
	v_add_f16_e32 v77, v68, v69
	v_sub_f16_e32 v78, v25, v13
	s_waitcnt lgkmcnt(1)
	v_lshrrev_b32_e32 v18, 16, v39
	s_waitcnt vmcnt(7)
	v_mul_f16_sdwa v37, v39, v48 dst_sel:DWORD dst_unused:UNUSED_PAD src0_sel:DWORD src1_sel:WORD_1
	v_fma_f16 v43, v18, v48, v37
	v_mul_f16_sdwa v18, v18, v48 dst_sel:DWORD dst_unused:UNUSED_PAD src0_sel:DWORD src1_sel:WORD_1
	v_fma_f16 v18, v39, v48, -v18
	s_waitcnt lgkmcnt(0)
	v_lshrrev_b32_e32 v37, 16, v46
	v_mul_f16_sdwa v39, v46, v49 dst_sel:DWORD dst_unused:UNUSED_PAD src0_sel:DWORD src1_sel:WORD_1
	v_fma_f16 v48, v37, v49, v39
	v_mul_f16_sdwa v37, v37, v49 dst_sel:DWORD dst_unused:UNUSED_PAD src0_sel:DWORD src1_sel:WORD_1
	v_fma_f16 v49, v46, v49, -v37
	v_lshrrev_b32_e32 v37, 16, v40
	s_waitcnt vmcnt(6)
	v_mul_f16_sdwa v39, v37, v50 dst_sel:DWORD dst_unused:UNUSED_PAD src0_sel:DWORD src1_sel:WORD_1
	v_fma_f16 v70, v40, v50, -v39
	v_mul_f16_sdwa v39, v40, v50 dst_sel:DWORD dst_unused:UNUSED_PAD src0_sel:DWORD src1_sel:WORD_1
	v_fma_f16 v50, v37, v50, v39
	v_lshrrev_b32_e32 v37, 16, v47
	ds_read2_b32 v[39:40], v34 offset0:110 offset1:191
	v_mul_f16_sdwa v34, v37, v51 dst_sel:DWORD dst_unused:UNUSED_PAD src0_sel:DWORD src1_sel:WORD_1
	v_fma_f16 v71, v47, v51, -v34
	v_mul_f16_sdwa v34, v47, v51 dst_sel:DWORD dst_unused:UNUSED_PAD src0_sel:DWORD src1_sel:WORD_1
	ds_read2_b32 v[46:47], v9 offset0:152 offset1:233
	v_fma_f16 v51, v37, v51, v34
	s_waitcnt lgkmcnt(1)
	v_lshrrev_b32_e32 v34, 16, v39
	v_cmp_ne_u32_e32 vcc, 0, v0
	s_waitcnt vmcnt(5)
	v_mul_f16_sdwa v9, v39, v52 dst_sel:DWORD dst_unused:UNUSED_PAD src0_sel:DWORD src1_sel:WORD_1
	v_fma_f16 v9, v34, v52, v9
	v_mul_f16_sdwa v34, v34, v52 dst_sel:DWORD dst_unused:UNUSED_PAD src0_sel:DWORD src1_sel:WORD_1
	v_fma_f16 v39, v39, v52, -v34
	s_waitcnt lgkmcnt(0)
	v_lshrrev_b32_e32 v34, 16, v46
	v_mul_f16_sdwa v37, v46, v53 dst_sel:DWORD dst_unused:UNUSED_PAD src0_sel:DWORD src1_sel:WORD_1
	v_fma_f16 v52, v34, v53, v37
	v_mul_f16_sdwa v34, v34, v53 dst_sel:DWORD dst_unused:UNUSED_PAD src0_sel:DWORD src1_sel:WORD_1
	v_fma_f16 v46, v46, v53, -v34
	v_lshrrev_b32_e32 v34, 16, v40
	s_waitcnt vmcnt(4)
	v_mul_f16_sdwa v37, v34, v44 dst_sel:DWORD dst_unused:UNUSED_PAD src0_sel:DWORD src1_sel:WORD_1
	v_fma_f16 v53, v40, v44, -v37
	v_mul_f16_sdwa v37, v40, v44 dst_sel:DWORD dst_unused:UNUSED_PAD src0_sel:DWORD src1_sel:WORD_1
	v_fma_f16 v40, v34, v44, v37
	v_lshrrev_b32_e32 v34, 16, v47
	ds_read2_b32 v[36:37], v36 offset0:16 offset1:97
	v_mul_f16_sdwa v44, v34, v45 dst_sel:DWORD dst_unused:UNUSED_PAD src0_sel:DWORD src1_sel:WORD_1
	v_fma_f16 v44, v47, v45, -v44
	v_mul_f16_sdwa v47, v47, v45 dst_sel:DWORD dst_unused:UNUSED_PAD src0_sel:DWORD src1_sel:WORD_1
	v_fma_f16 v45, v34, v45, v47
	ds_read2_b32 v[33:34], v33 offset0:58 offset1:139
	s_waitcnt lgkmcnt(1)
	v_lshrrev_b32_e32 v47, 16, v36
	s_waitcnt vmcnt(3)
	v_mul_f16_sdwa v72, v36, v54 dst_sel:DWORD dst_unused:UNUSED_PAD src0_sel:DWORD src1_sel:WORD_1
	v_fma_f16 v72, v47, v54, v72
	v_mul_f16_sdwa v47, v47, v54 dst_sel:DWORD dst_unused:UNUSED_PAD src0_sel:DWORD src1_sel:WORD_1
	v_fma_f16 v47, v36, v54, -v47
	s_waitcnt lgkmcnt(0)
	v_lshrrev_b32_e32 v36, 16, v33
	v_mul_f16_sdwa v54, v33, v55 dst_sel:DWORD dst_unused:UNUSED_PAD src0_sel:DWORD src1_sel:WORD_1
	v_fma_f16 v54, v36, v55, v54
	v_mul_f16_sdwa v36, v36, v55 dst_sel:DWORD dst_unused:UNUSED_PAD src0_sel:DWORD src1_sel:WORD_1
	v_fma_f16 v55, v33, v55, -v36
	v_lshrrev_b32_e32 v33, 16, v37
	s_waitcnt vmcnt(2)
	v_mul_f16_sdwa v36, v33, v56 dst_sel:DWORD dst_unused:UNUSED_PAD src0_sel:DWORD src1_sel:WORD_1
	v_fma_f16 v73, v37, v56, -v36
	v_mul_f16_sdwa v36, v37, v56 dst_sel:DWORD dst_unused:UNUSED_PAD src0_sel:DWORD src1_sel:WORD_1
	v_fma_f16 v56, v33, v56, v36
	v_lshrrev_b32_e32 v33, 16, v34
	ds_read2_b32 v[36:37], v5 offset0:50 offset1:131
	v_mul_f16_sdwa v5, v33, v57 dst_sel:DWORD dst_unused:UNUSED_PAD src0_sel:DWORD src1_sel:WORD_1
	v_fma_f16 v5, v34, v57, -v5
	v_mul_f16_sdwa v34, v34, v57 dst_sel:DWORD dst_unused:UNUSED_PAD src0_sel:DWORD src1_sel:WORD_1
	v_fma_f16 v57, v33, v57, v34
	ds_read2_b32 v[33:34], v35 offset0:92 offset1:173
	s_waitcnt lgkmcnt(1)
	v_lshrrev_b32_e32 v74, 16, v36
	s_waitcnt vmcnt(1)
	v_mul_f16_sdwa v35, v36, v58 dst_sel:DWORD dst_unused:UNUSED_PAD src0_sel:DWORD src1_sel:WORD_1
	v_fma_f16 v35, v74, v58, v35
	v_mul_f16_sdwa v74, v74, v58 dst_sel:DWORD dst_unused:UNUSED_PAD src0_sel:DWORD src1_sel:WORD_1
	v_fma_f16 v36, v36, v58, -v74
	s_waitcnt lgkmcnt(0)
	v_lshrrev_b32_e32 v58, 16, v33
	v_mul_f16_sdwa v74, v33, v59 dst_sel:DWORD dst_unused:UNUSED_PAD src0_sel:DWORD src1_sel:WORD_1
	v_fma_f16 v74, v58, v59, v74
	v_mul_f16_sdwa v58, v58, v59 dst_sel:DWORD dst_unused:UNUSED_PAD src0_sel:DWORD src1_sel:WORD_1
	v_fma_f16 v33, v33, v59, -v58
	v_lshrrev_b32_e32 v58, 16, v37
	s_waitcnt vmcnt(0)
	v_mul_f16_sdwa v59, v58, v60 dst_sel:DWORD dst_unused:UNUSED_PAD src0_sel:DWORD src1_sel:WORD_1
	v_fma_f16 v59, v37, v60, -v59
	v_mul_f16_sdwa v37, v37, v60 dst_sel:DWORD dst_unused:UNUSED_PAD src0_sel:DWORD src1_sel:WORD_1
	v_fma_f16 v37, v58, v60, v37
	v_lshrrev_b32_e32 v58, 16, v34
	v_mul_f16_sdwa v60, v58, v61 dst_sel:DWORD dst_unused:UNUSED_PAD src0_sel:DWORD src1_sel:WORD_1
	v_fma_f16 v60, v34, v61, -v60
	v_mul_f16_sdwa v34, v34, v61 dst_sel:DWORD dst_unused:UNUSED_PAD src0_sel:DWORD src1_sel:WORD_1
	v_fma_f16 v34, v58, v61, v34
	v_add_f16_e32 v58, v63, v65
	v_fma_f16 v58, v58, -0.5, v67
	v_sub_f16_e32 v61, v62, v64
	v_fma_f16 v75, v61, s4, v58
	v_fma_f16 v58, v61, s5, v58
	v_lshrrev_b32_e32 v61, 16, v67
	v_add_f16_e32 v76, v61, v62
	v_add_f16_e32 v62, v62, v64
	v_fma_f16 v61, v62, -0.5, v61
	v_add_f16_e32 v62, v67, v63
	v_add_f16_e32 v62, v62, v65
	v_sub_f16_e32 v63, v63, v65
	ds_read_b32 v65, v42
	v_add_f16_e32 v76, v76, v64
	v_fma_f16 v64, v63, s5, v61
	v_fma_f16 v61, v63, s4, v61
	ds_read_b32 v63, v41
	ds_read_b32 v67, v38
	s_waitcnt lgkmcnt(2)
	v_fma_f16 v77, v77, -0.5, v65
	v_fma_f16 v79, v78, s4, v77
	v_fma_f16 v77, v78, s5, v77
	v_lshrrev_b32_e32 v78, 16, v65
	v_add_f16_e32 v80, v78, v25
	v_add_f16_e32 v80, v80, v13
	;; [unrolled: 1-line block ×3, first 2 shown]
	v_fma_f16 v13, v13, -0.5, v78
	v_add_f16_e32 v25, v65, v68
	v_sub_f16_e32 v65, v68, v69
	v_add_f16_e32 v25, v25, v69
	v_fma_f16 v68, v65, s5, v13
	v_fma_f16 v13, v65, s4, v13
	v_pack_b32_f16 v62, v62, v76
	s_waitcnt lgkmcnt(0)
	s_barrier
	ds_write_b32 v26, v62
	v_pack_b32_f16 v62, v75, v64
	v_pack_b32_f16 v58, v58, v61
	;; [unrolled: 1-line block ×4, first 2 shown]
	ds_write_b32 v26, v62 offset:3240
	ds_write_b32 v26, v58 offset:6480
	ds_write_b32 v42, v25
	v_pack_b32_f16 v25, v79, v68
	ds_write_b32 v42, v13 offset:6480
	v_add_f16_e32 v13, v18, v49
	ds_write_b32 v42, v25 offset:3240
	v_fma_f16 v13, v13, -0.5, v63
	v_sub_f16_e32 v25, v43, v48
	v_fma_f16 v42, v25, s4, v13
	v_fma_f16 v13, v25, s5, v13
	v_lshrrev_b32_e32 v25, 16, v63
	v_add_f16_e32 v58, v25, v43
	v_add_f16_e32 v43, v43, v48
	v_fma_f16 v25, v43, -0.5, v25
	v_add_f16_e32 v43, v63, v18
	v_sub_f16_e32 v18, v18, v49
	v_add_f16_e32 v58, v58, v48
	v_fma_f16 v48, v18, s5, v25
	v_fma_f16 v18, v18, s4, v25
	v_add_f16_e32 v43, v43, v49
	v_pack_b32_f16 v13, v13, v18
	v_pack_b32_f16 v25, v43, v58
	ds_write_b32 v41, v13 offset:6480
	v_add_f16_e32 v13, v70, v71
	ds_write_b32 v41, v25
	v_pack_b32_f16 v25, v42, v48
	v_fma_f16 v13, v13, -0.5, v66
	v_sub_f16_e32 v18, v50, v51
	ds_write_b32 v41, v25 offset:3240
	v_fma_f16 v25, v18, s4, v13
	v_fma_f16 v13, v18, s5, v13
	v_lshrrev_b32_e32 v18, 16, v66
	v_add_f16_e32 v42, v50, v51
	v_add_f16_e32 v41, v18, v50
	v_fma_f16 v18, v42, -0.5, v18
	v_sub_f16_e32 v43, v70, v71
	v_fma_f16 v48, v43, s5, v18
	v_fma_f16 v18, v43, s4, v18
	v_add_f16_e32 v43, v39, v46
	v_fma_f16 v43, v43, -0.5, v24
	v_sub_f16_e32 v49, v9, v52
	v_fma_f16 v50, v49, s4, v43
	v_fma_f16 v43, v49, s5, v43
	v_lshrrev_b32_e32 v49, 16, v24
	v_add_f16_e32 v41, v41, v51
	v_add_f16_e32 v51, v49, v9
	;; [unrolled: 1-line block ×3, first 2 shown]
	v_fma_f16 v9, v9, -0.5, v49
	v_add_f16_e32 v24, v24, v39
	v_sub_f16_e32 v39, v39, v46
	v_add_f16_e32 v24, v24, v46
	v_fma_f16 v46, v39, s5, v9
	v_fma_f16 v9, v39, s4, v9
	v_add_f16_e32 v39, v53, v44
	v_fma_f16 v39, v39, -0.5, v23
	v_sub_f16_e32 v49, v40, v45
	v_add_f16_e32 v51, v51, v52
	v_fma_f16 v52, v49, s4, v39
	v_fma_f16 v39, v49, s5, v39
	v_lshrrev_b32_e32 v49, 16, v23
	v_add_f16_e32 v58, v49, v40
	v_add_f16_e32 v40, v40, v45
	;; [unrolled: 1-line block ×3, first 2 shown]
	v_fma_f16 v40, v40, -0.5, v49
	v_add_f16_e32 v23, v23, v44
	v_sub_f16_e32 v44, v53, v44
	v_add_f16_e32 v58, v58, v45
	v_fma_f16 v45, v44, s5, v40
	v_fma_f16 v40, v44, s4, v40
	v_add_f16_e32 v44, v47, v55
	v_fma_f16 v44, v44, -0.5, v22
	v_sub_f16_e32 v49, v72, v54
	v_fma_f16 v53, v49, s4, v44
	v_fma_f16 v44, v49, s5, v44
	v_lshrrev_b32_e32 v49, 16, v22
	v_add_f16_e32 v61, v49, v72
	v_add_f16_e32 v61, v61, v54
	;; [unrolled: 1-line block ×3, first 2 shown]
	v_fma_f16 v49, v54, -0.5, v49
	v_add_f16_e32 v22, v22, v47
	v_sub_f16_e32 v47, v47, v55
	v_fma_f16 v54, v47, s5, v49
	v_fma_f16 v47, v47, s4, v49
	v_add_f16_e32 v49, v73, v5
	v_add_f16_e32 v22, v22, v55
	v_fma_f16 v49, v49, -0.5, v21
	v_sub_f16_e32 v55, v56, v57
	v_fma_f16 v62, v55, s4, v49
	v_fma_f16 v49, v55, s5, v49
	v_lshrrev_b32_e32 v55, 16, v21
	v_add_f16_e32 v42, v66, v70
	v_add_f16_e32 v63, v55, v56
	;; [unrolled: 1-line block ×5, first 2 shown]
	v_fma_f16 v55, v56, -0.5, v55
	v_add_f16_e32 v21, v21, v5
	v_sub_f16_e32 v5, v73, v5
	v_pack_b32_f16 v13, v13, v18
	v_fma_f16 v56, v5, s5, v55
	v_fma_f16 v5, v5, s4, v55
	v_add_f16_e32 v55, v36, v33
	v_pack_b32_f16 v41, v42, v41
	v_pack_b32_f16 v25, v25, v48
	ds_write_b32 v32, v13 offset:6480
	v_pack_b32_f16 v13, v24, v51
	v_pack_b32_f16 v9, v43, v9
	v_add_f16_e32 v63, v63, v57
	v_fma_f16 v55, v55, -0.5, v20
	v_sub_f16_e32 v57, v35, v74
	ds_write_b32 v32, v41
	ds_write_b32 v32, v25 offset:3240
	ds_write_b32 v31, v13
	v_pack_b32_f16 v13, v50, v46
	ds_write_b32 v31, v9 offset:6480
	v_pack_b32_f16 v9, v23, v58
	v_fma_f16 v64, v57, s4, v55
	v_fma_f16 v55, v57, s5, v55
	v_lshrrev_b32_e32 v57, 16, v20
	ds_write_b32 v31, v13 offset:3240
	ds_write_b32 v30, v9
	v_pack_b32_f16 v9, v52, v45
	v_add_f16_e32 v65, v57, v35
	v_add_f16_e32 v35, v35, v74
	;; [unrolled: 1-line block ×3, first 2 shown]
	ds_write_b32 v30, v9 offset:3240
	v_pack_b32_f16 v9, v39, v40
	v_fma_f16 v35, v35, -0.5, v57
	v_add_f16_e32 v20, v20, v33
	v_sub_f16_e32 v33, v36, v33
	ds_write_b32 v30, v9 offset:6480
	v_pack_b32_f16 v9, v22, v61
	v_fma_f16 v36, v33, s5, v35
	v_fma_f16 v33, v33, s4, v35
	v_add_f16_e32 v35, v59, v60
	ds_write_b32 v29, v9
	v_pack_b32_f16 v9, v53, v54
	v_fma_f16 v35, v35, -0.5, v67
	v_sub_f16_e32 v57, v37, v34
	ds_write_b32 v29, v9 offset:3240
	v_pack_b32_f16 v9, v44, v47
	v_add_f16_e32 v65, v65, v74
	v_fma_f16 v66, v57, s4, v35
	v_fma_f16 v35, v57, s5, v35
	v_lshrrev_b32_e32 v57, 16, v67
	ds_write_b32 v29, v9 offset:6480
	v_pack_b32_f16 v9, v21, v63
	v_pack_b32_f16 v5, v49, v5
	v_add_f16_e32 v68, v57, v37
	ds_write_b32 v28, v9
	v_pack_b32_f16 v9, v62, v56
	ds_write_b32 v28, v5 offset:6480
	v_pack_b32_f16 v5, v20, v65
	v_add_f16_e32 v68, v68, v34
	v_add_f16_e32 v34, v37, v34
	;; [unrolled: 1-line block ×3, first 2 shown]
	ds_write_b32 v28, v9 offset:3240
	ds_write_b32 v27, v5
	v_pack_b32_f16 v5, v64, v36
	v_fma_f16 v34, v34, -0.5, v57
	v_add_f16_e32 v37, v37, v60
	v_sub_f16_e32 v57, v59, v60
	ds_write_b32 v27, v5 offset:3240
	v_pack_b32_f16 v5, v55, v33
	v_fma_f16 v59, v57, s5, v34
	ds_write_b32 v27, v5 offset:6480
	v_pack_b32_f16 v5, v37, v68
	v_fma_f16 v34, v57, s4, v34
	ds_write_b32 v38, v5
	v_pack_b32_f16 v5, v66, v59
	ds_write_b32 v38, v5 offset:3240
	v_pack_b32_f16 v5, v35, v34
	ds_write_b32 v38, v5 offset:6480
	s_waitcnt lgkmcnt(0)
	s_barrier
	ds_read_b32 v5, v26
	v_sub_u32_e32 v22, 0, v1
                                        ; implicit-def: $vgpr13
                                        ; implicit-def: $vgpr9
                                        ; implicit-def: $vgpr23
                                        ; implicit-def: $vgpr20_vgpr21
	s_and_saveexec_b64 s[4:5], vcc
	s_xor_b64 s[4:5], exec, s[4:5]
	s_cbranch_execz .LBB0_15
; %bb.14:
	v_mov_b32_e32 v1, v19
	v_lshlrev_b64 v[18:19], 2, v[0:1]
	v_mov_b32_e32 v9, s7
	v_add_co_u32_e32 v18, vcc, s6, v18
	v_addc_co_u32_e32 v19, vcc, v9, v19, vcc
	global_load_dword v9, v[18:19], off
	ds_read_b32 v13, v22 offset:9720
	s_waitcnt lgkmcnt(0)
	v_sub_f16_e32 v20, v5, v13
	v_add_f16_e32 v18, v13, v5
	v_add_f16_sdwa v19, v13, v5 dst_sel:DWORD dst_unused:UNUSED_PAD src0_sel:WORD_1 src1_sel:WORD_1
	v_sub_f16_sdwa v5, v5, v13 dst_sel:DWORD dst_unused:UNUSED_PAD src0_sel:WORD_1 src1_sel:WORD_1
	v_mul_f16_e32 v13, 0.5, v20
	v_mul_f16_e32 v19, 0.5, v19
	;; [unrolled: 1-line block ×3, first 2 shown]
	s_waitcnt vmcnt(0)
	v_lshrrev_b32_e32 v20, 16, v9
	v_mul_f16_e32 v21, v20, v13
	v_fma_f16 v23, v19, v20, v5
	v_fma_f16 v5, v19, v20, -v5
	v_fma_f16 v20, v18, 0.5, v21
	v_fma_f16 v23, -v9, v13, v23
	v_fma_f16 v18, v18, 0.5, -v21
	v_fma_f16 v13, -v9, v13, v5
	v_fma_f16 v5, v9, v19, v20
	v_mov_b32_e32 v21, v1
	v_fma_f16 v9, -v9, v19, v18
	ds_write_b16 v26, v5
	v_mov_b32_e32 v20, v0
                                        ; implicit-def: $vgpr5
.LBB0_15:
	s_or_saveexec_b64 s[4:5], s[4:5]
	v_mul_i32_i24_e32 v1, 0xffffffdc, v4
	v_mul_i32_i24_e32 v19, 0xffffffdc, v17
	s_xor_b64 exec, exec, s[4:5]
	s_cbranch_execz .LBB0_17
; %bb.16:
	v_mov_b32_e32 v23, 0
	ds_read_u16 v13, v23 offset:4862
	v_mov_b32_e32 v20, 0
	s_waitcnt lgkmcnt(1)
	v_add_f16_sdwa v18, v5, v5 dst_sel:DWORD dst_unused:UNUSED_PAD src0_sel:WORD_1 src1_sel:DWORD
	v_sub_f16_sdwa v9, v5, v5 dst_sel:DWORD dst_unused:UNUSED_PAD src0_sel:DWORD src1_sel:WORD_1
	v_mov_b32_e32 v21, 0
	s_waitcnt lgkmcnt(0)
	v_xor_b32_e32 v5, 0x8000, v13
	v_mov_b32_e32 v13, 0
	ds_write_b16 v26, v18
	ds_write_b16 v23, v5 offset:4862
.LBB0_17:
	s_or_b64 exec, exec, s[4:5]
	s_waitcnt lgkmcnt(0)
	v_mov_b32_e32 v5, 0
	v_lshlrev_b64 v[24:25], 2, v[4:5]
	v_mov_b32_e32 v4, s7
	v_add_co_u32_e32 v24, vcc, s6, v24
	v_addc_co_u32_e32 v25, vcc, v4, v25, vcc
	global_load_dword v4, v[24:25], off
	v_mov_b32_e32 v18, v5
	v_lshlrev_b64 v[17:18], 2, v[17:18]
	v_mov_b32_e32 v24, s7
	v_add_co_u32_e32 v17, vcc, s6, v17
	v_addc_co_u32_e32 v18, vcc, v24, v18, vcc
	global_load_dword v18, v[17:18], off
	s_mov_b32 s5, 0x5040100
	v_perm_b32 v35, v13, v9, s5
	v_mov_b32_e32 v9, v5
	v_lshlrev_b64 v[8:9], 2, v[8:9]
	ds_write_b16 v26, v23 offset:2
	v_mov_b32_e32 v23, s7
	v_add_co_u32_e32 v8, vcc, s6, v8
	v_addc_co_u32_e32 v9, vcc, v23, v9, vcc
	global_load_dword v23, v[8:9], off
	v_add_u32_e32 v1, v11, v1
	ds_write_b32 v22, v35 offset:9720
	ds_read_b32 v36, v22 offset:9396
	ds_read_b32 v35, v1
	v_mov_b32_e32 v11, v5
	v_lshlrev_b64 v[10:11], 2, v[10:11]
	s_mov_b32 s4, 0xffff
	v_add_co_u32_e32 v10, vcc, s6, v10
	s_waitcnt lgkmcnt(0)
	v_pk_add_f16 v8, v35, v36 neg_lo:[0,1] neg_hi:[0,1]
	v_pk_add_f16 v9, v35, v36
	v_addc_co_u32_e32 v11, vcc, v24, v11, vcc
	v_bfi_b32 v24, s4, v8, v9
	v_bfi_b32 v8, s4, v9, v8
	v_pk_mul_f16 v9, v24, 0.5 op_sel_hi:[1,0]
	v_pk_mul_f16 v8, v8, 0.5 op_sel_hi:[1,0]
	v_add_u32_e32 v19, v15, v19
	v_mov_b32_e32 v13, v5
	v_lshlrev_b64 v[12:13], 2, v[12:13]
	v_mov_b32_e32 v15, v5
	v_mov_b32_e32 v25, s7
	v_lshlrev_b64 v[14:15], 2, v[14:15]
	v_mov_b32_e32 v33, s7
	;; [unrolled: 3-line block ×3, first 2 shown]
	s_movk_i32 s5, 0x1000
	s_waitcnt vmcnt(2)
	v_pk_fma_f16 v24, v4, v9, v8 op_sel:[1,0,0]
	v_pk_mul_f16 v35, v4, v9 op_sel_hi:[0,1]
	v_pk_fma_f16 v36, v4, v9, v8 op_sel:[1,0,0] neg_lo:[1,0,0] neg_hi:[1,0,0]
	v_pk_fma_f16 v4, v4, v9, v8 op_sel:[1,0,0] neg_lo:[0,0,1] neg_hi:[0,0,1]
	v_pk_add_f16 v8, v24, v35 op_sel:[0,1] op_sel_hi:[1,0]
	v_pk_add_f16 v9, v24, v35 op_sel:[0,1] op_sel_hi:[1,0] neg_lo:[0,1] neg_hi:[0,1]
	v_pk_add_f16 v24, v36, v35 op_sel:[0,1] op_sel_hi:[1,0] neg_lo:[0,1] neg_hi:[0,1]
	;; [unrolled: 1-line block ×3, first 2 shown]
	v_bfi_b32 v8, s4, v8, v9
	v_bfi_b32 v4, s4, v24, v4
	ds_write_b32 v1, v8
	ds_write_b32 v22, v4 offset:9396
	ds_read_b32 v1, v19
	ds_read_b32 v4, v22 offset:9072
	global_load_dword v24, v[10:11], off
	v_add_co_u32_e32 v8, vcc, s6, v12
	v_addc_co_u32_e32 v9, vcc, v25, v13, vcc
	s_waitcnt lgkmcnt(0)
	v_pk_add_f16 v10, v1, v4 neg_lo:[0,1] neg_hi:[0,1]
	v_pk_add_f16 v1, v1, v4
	v_bfi_b32 v4, s4, v10, v1
	v_bfi_b32 v1, s4, v1, v10
	v_pk_mul_f16 v4, v4, 0.5 op_sel_hi:[1,0]
	v_pk_mul_f16 v1, v1, 0.5 op_sel_hi:[1,0]
	s_waitcnt vmcnt(2)
	v_pk_fma_f16 v10, v18, v4, v1 op_sel:[1,0,0]
	v_pk_mul_f16 v11, v18, v4 op_sel_hi:[0,1]
	v_pk_fma_f16 v12, v18, v4, v1 op_sel:[1,0,0] neg_lo:[1,0,0] neg_hi:[1,0,0]
	v_pk_fma_f16 v1, v18, v4, v1 op_sel:[1,0,0] neg_lo:[0,0,1] neg_hi:[0,0,1]
	v_pk_add_f16 v4, v10, v11 op_sel:[0,1] op_sel_hi:[1,0]
	v_pk_add_f16 v10, v10, v11 op_sel:[0,1] op_sel_hi:[1,0] neg_lo:[0,1] neg_hi:[0,1]
	v_pk_add_f16 v12, v12, v11 op_sel:[0,1] op_sel_hi:[1,0] neg_lo:[0,1] neg_hi:[0,1]
	;; [unrolled: 1-line block ×3, first 2 shown]
	v_bfi_b32 v4, s4, v4, v10
	v_bfi_b32 v1, s4, v12, v1
	ds_write_b32 v19, v4
	ds_write_b32 v22, v1 offset:9072
	v_add_co_u32_e32 v10, vcc, s6, v14
	ds_read_b32 v1, v32
	ds_read_b32 v4, v22 offset:8748
	v_addc_co_u32_e32 v11, vcc, v33, v15, vcc
	global_load_dword v15, v[8:9], off
	global_load_dword v18, v[10:11], off
	v_add_co_u32_e32 v9, vcc, s6, v16
	s_waitcnt lgkmcnt(0)
	v_pk_add_f16 v8, v1, v4 neg_lo:[0,1] neg_hi:[0,1]
	v_pk_add_f16 v1, v1, v4
	v_bfi_b32 v4, s4, v8, v1
	v_bfi_b32 v1, s4, v1, v8
	v_mov_b32_e32 v8, v5
	v_lshlrev_b64 v[7:8], 2, v[7:8]
	v_addc_co_u32_e32 v10, vcc, v34, v17, vcc
	v_pk_mul_f16 v19, v4, 0.5 op_sel_hi:[1,0]
	v_mov_b32_e32 v4, s7
	v_add_co_u32_e32 v11, vcc, s6, v7
	v_mov_b32_e32 v7, v5
	v_addc_co_u32_e32 v12, vcc, v4, v8, vcc
	v_lshlrev_b64 v[4:5], 2, v[6:7]
	v_mov_b32_e32 v7, s7
	v_add_co_u32_e32 v6, vcc, s6, v4
	v_addc_co_u32_e32 v7, vcc, v7, v5, vcc
	v_lshlrev_b64 v[4:5], 2, v[20:21]
	v_mov_b32_e32 v8, s7
	v_add_co_u32_e32 v13, vcc, s6, v4
	v_addc_co_u32_e32 v14, vcc, v8, v5, vcc
	global_load_dword v8, v[9:10], off
	global_load_dword v16, v[11:12], off
	;; [unrolled: 1-line block ×3, first 2 shown]
	global_load_dword v20, v[13:14], off offset:3240
	v_pk_mul_f16 v1, v1, 0.5 op_sel_hi:[1,0]
	s_waitcnt vmcnt(7)
	v_pk_fma_f16 v6, v23, v19, v1 op_sel:[1,0,0]
	v_pk_mul_f16 v7, v23, v19 op_sel_hi:[0,1]
	v_pk_add_f16 v9, v6, v7 op_sel:[0,1] op_sel_hi:[1,0]
	v_pk_add_f16 v6, v6, v7 op_sel:[0,1] op_sel_hi:[1,0] neg_lo:[0,1] neg_hi:[0,1]
	v_bfi_b32 v6, s4, v9, v6
	ds_write_b32 v32, v6
	v_pk_fma_f16 v6, v23, v19, v1 op_sel:[1,0,0] neg_lo:[1,0,0] neg_hi:[1,0,0]
	v_pk_fma_f16 v1, v23, v19, v1 op_sel:[1,0,0] neg_lo:[0,0,1] neg_hi:[0,0,1]
	v_pk_add_f16 v6, v6, v7 op_sel:[0,1] op_sel_hi:[1,0] neg_lo:[0,1] neg_hi:[0,1]
	v_pk_add_f16 v1, v1, v7 op_sel:[0,1] op_sel_hi:[1,0] neg_lo:[0,1] neg_hi:[0,1]
	v_bfi_b32 v1, s4, v6, v1
	ds_write_b32 v22, v1 offset:8748
	ds_read_b32 v1, v31
	ds_read_b32 v6, v22 offset:8424
	s_waitcnt lgkmcnt(0)
	v_pk_add_f16 v7, v1, v6 neg_lo:[0,1] neg_hi:[0,1]
	v_pk_add_f16 v1, v1, v6
	v_bfi_b32 v6, s4, v7, v1
	v_bfi_b32 v1, s4, v1, v7
	v_pk_mul_f16 v6, v6, 0.5 op_sel_hi:[1,0]
	v_pk_mul_f16 v1, v1, 0.5 op_sel_hi:[1,0]
	s_waitcnt vmcnt(6)
	v_pk_fma_f16 v7, v24, v6, v1 op_sel:[1,0,0]
	v_pk_mul_f16 v9, v24, v6 op_sel_hi:[0,1]
	v_pk_add_f16 v10, v7, v9 op_sel:[0,1] op_sel_hi:[1,0]
	v_pk_add_f16 v7, v7, v9 op_sel:[0,1] op_sel_hi:[1,0] neg_lo:[0,1] neg_hi:[0,1]
	v_bfi_b32 v7, s4, v10, v7
	ds_write_b32 v31, v7
	v_pk_fma_f16 v7, v24, v6, v1 op_sel:[1,0,0] neg_lo:[1,0,0] neg_hi:[1,0,0]
	v_pk_fma_f16 v1, v24, v6, v1 op_sel:[1,0,0] neg_lo:[0,0,1] neg_hi:[0,0,1]
	v_pk_add_f16 v7, v7, v9 op_sel:[0,1] op_sel_hi:[1,0] neg_lo:[0,1] neg_hi:[0,1]
	v_pk_add_f16 v1, v1, v9 op_sel:[0,1] op_sel_hi:[1,0] neg_lo:[0,1] neg_hi:[0,1]
	v_bfi_b32 v1, s4, v7, v1
	ds_write_b32 v22, v1 offset:8424
	ds_read_b32 v1, v30
	ds_read_b32 v6, v22 offset:8100
	s_waitcnt lgkmcnt(0)
	v_pk_add_f16 v7, v1, v6 neg_lo:[0,1] neg_hi:[0,1]
	v_pk_add_f16 v1, v1, v6
	v_bfi_b32 v6, s4, v7, v1
	v_bfi_b32 v1, s4, v1, v7
	v_pk_mul_f16 v6, v6, 0.5 op_sel_hi:[1,0]
	;; [unrolled: 22-line block ×4, first 2 shown]
	v_pk_mul_f16 v1, v1, 0.5 op_sel_hi:[1,0]
	s_waitcnt vmcnt(3)
	v_pk_fma_f16 v7, v8, v6, v1 op_sel:[1,0,0]
	v_pk_mul_f16 v9, v8, v6 op_sel_hi:[0,1]
	v_pk_add_f16 v10, v7, v9 op_sel:[0,1] op_sel_hi:[1,0]
	v_pk_add_f16 v7, v7, v9 op_sel:[0,1] op_sel_hi:[1,0] neg_lo:[0,1] neg_hi:[0,1]
	v_bfi_b32 v7, s4, v10, v7
	ds_write_b32 v28, v7
	v_pk_fma_f16 v7, v8, v6, v1 op_sel:[1,0,0] neg_lo:[1,0,0] neg_hi:[1,0,0]
	v_pk_fma_f16 v1, v8, v6, v1 op_sel:[1,0,0] neg_lo:[0,0,1] neg_hi:[0,0,1]
	v_pk_add_f16 v7, v7, v9 op_sel:[0,1] op_sel_hi:[1,0] neg_lo:[0,1] neg_hi:[0,1]
	v_pk_add_f16 v1, v1, v9 op_sel:[0,1] op_sel_hi:[1,0] neg_lo:[0,1] neg_hi:[0,1]
	v_bfi_b32 v1, s4, v7, v1
	ds_write_b32 v22, v1 offset:7452
	ds_read_b32 v1, v27
	ds_read_b32 v6, v22 offset:7128
	global_load_dword v8, v[13:14], off offset:3564
	s_waitcnt lgkmcnt(0)
	v_pk_add_f16 v7, v1, v6 neg_lo:[0,1] neg_hi:[0,1]
	v_pk_add_f16 v1, v1, v6
	v_bfi_b32 v6, s4, v7, v1
	v_bfi_b32 v1, s4, v1, v7
	v_pk_mul_f16 v6, v6, 0.5 op_sel_hi:[1,0]
	v_pk_mul_f16 v1, v1, 0.5 op_sel_hi:[1,0]
	s_waitcnt vmcnt(3)
	v_pk_fma_f16 v7, v16, v6, v1 op_sel:[1,0,0]
	v_pk_mul_f16 v9, v16, v6 op_sel_hi:[0,1]
	v_pk_add_f16 v10, v7, v9 op_sel:[0,1] op_sel_hi:[1,0]
	v_pk_add_f16 v7, v7, v9 op_sel:[0,1] op_sel_hi:[1,0] neg_lo:[0,1] neg_hi:[0,1]
	v_bfi_b32 v7, s4, v10, v7
	ds_write_b32 v27, v7
	v_pk_fma_f16 v7, v16, v6, v1 op_sel:[1,0,0] neg_lo:[1,0,0] neg_hi:[1,0,0]
	v_pk_fma_f16 v1, v16, v6, v1 op_sel:[1,0,0] neg_lo:[0,0,1] neg_hi:[0,0,1]
	v_pk_add_f16 v7, v7, v9 op_sel:[0,1] op_sel_hi:[1,0] neg_lo:[0,1] neg_hi:[0,1]
	v_pk_add_f16 v1, v1, v9 op_sel:[0,1] op_sel_hi:[1,0] neg_lo:[0,1] neg_hi:[0,1]
	v_bfi_b32 v1, s4, v7, v1
	ds_write_b32 v22, v1 offset:7128
	ds_read_b32 v1, v38
	ds_read_b32 v6, v22 offset:6804
	global_load_dword v9, v[13:14], off offset:3888
	s_waitcnt lgkmcnt(0)
	v_pk_add_f16 v7, v1, v6 neg_lo:[0,1] neg_hi:[0,1]
	v_pk_add_f16 v1, v1, v6
	v_bfi_b32 v6, s4, v7, v1
	v_bfi_b32 v1, s4, v1, v7
	v_pk_mul_f16 v6, v6, 0.5 op_sel_hi:[1,0]
	v_pk_mul_f16 v1, v1, 0.5 op_sel_hi:[1,0]
	s_waitcnt vmcnt(3)
	v_pk_fma_f16 v7, v17, v6, v1 op_sel:[1,0,0]
	v_pk_mul_f16 v10, v17, v6 op_sel_hi:[0,1]
	v_pk_add_f16 v11, v7, v10 op_sel:[0,1] op_sel_hi:[1,0]
	v_pk_add_f16 v7, v7, v10 op_sel:[0,1] op_sel_hi:[1,0] neg_lo:[0,1] neg_hi:[0,1]
	v_bfi_b32 v7, s4, v11, v7
	ds_write_b32 v38, v7
	v_pk_fma_f16 v7, v17, v6, v1 op_sel:[1,0,0] neg_lo:[1,0,0] neg_hi:[1,0,0]
	v_pk_fma_f16 v1, v17, v6, v1 op_sel:[1,0,0] neg_lo:[0,0,1] neg_hi:[0,0,1]
	v_pk_add_f16 v7, v7, v10 op_sel:[0,1] op_sel_hi:[1,0] neg_lo:[0,1] neg_hi:[0,1]
	v_pk_add_f16 v1, v1, v10 op_sel:[0,1] op_sel_hi:[1,0] neg_lo:[0,1] neg_hi:[0,1]
	v_bfi_b32 v1, s4, v7, v1
	v_add_co_u32_e32 v6, vcc, s5, v13
	ds_write_b32 v22, v1 offset:6804
	v_addc_co_u32_e32 v7, vcc, 0, v14, vcc
	ds_read_b32 v1, v26 offset:3240
	ds_read_b32 v10, v22 offset:6480
	global_load_dword v11, v[6:7], off offset:116
	s_waitcnt lgkmcnt(0)
	v_pk_add_f16 v12, v1, v10 neg_lo:[0,1] neg_hi:[0,1]
	v_pk_add_f16 v1, v1, v10
	v_bfi_b32 v10, s4, v12, v1
	v_bfi_b32 v1, s4, v1, v12
	v_pk_mul_f16 v10, v10, 0.5 op_sel_hi:[1,0]
	v_pk_mul_f16 v1, v1, 0.5 op_sel_hi:[1,0]
	s_waitcnt vmcnt(3)
	v_pk_fma_f16 v12, v20, v10, v1 op_sel:[1,0,0]
	v_pk_mul_f16 v13, v20, v10 op_sel_hi:[0,1]
	v_pk_add_f16 v14, v12, v13 op_sel:[0,1] op_sel_hi:[1,0]
	v_pk_add_f16 v12, v12, v13 op_sel:[0,1] op_sel_hi:[1,0] neg_lo:[0,1] neg_hi:[0,1]
	v_bfi_b32 v12, s4, v14, v12
	ds_write_b32 v26, v12 offset:3240
	v_pk_fma_f16 v12, v20, v10, v1 op_sel:[1,0,0] neg_lo:[1,0,0] neg_hi:[1,0,0]
	v_pk_fma_f16 v1, v20, v10, v1 op_sel:[1,0,0] neg_lo:[0,0,1] neg_hi:[0,0,1]
	v_pk_add_f16 v12, v12, v13 op_sel:[0,1] op_sel_hi:[1,0] neg_lo:[0,1] neg_hi:[0,1]
	v_pk_add_f16 v1, v1, v13 op_sel:[0,1] op_sel_hi:[1,0] neg_lo:[0,1] neg_hi:[0,1]
	v_bfi_b32 v1, s4, v12, v1
	ds_write_b32 v22, v1 offset:6480
	ds_read_b32 v1, v26 offset:3564
	ds_read_b32 v10, v22 offset:6156
	global_load_dword v6, v[6:7], off offset:440
	s_waitcnt lgkmcnt(0)
	v_pk_add_f16 v7, v1, v10 neg_lo:[0,1] neg_hi:[0,1]
	v_pk_add_f16 v1, v1, v10
	v_bfi_b32 v10, s4, v7, v1
	v_bfi_b32 v1, s4, v1, v7
	v_pk_mul_f16 v7, v10, 0.5 op_sel_hi:[1,0]
	v_pk_mul_f16 v1, v1, 0.5 op_sel_hi:[1,0]
	s_waitcnt vmcnt(3)
	v_pk_fma_f16 v10, v8, v7, v1 op_sel:[1,0,0]
	v_pk_mul_f16 v12, v8, v7 op_sel_hi:[0,1]
	v_pk_add_f16 v13, v10, v12 op_sel:[0,1] op_sel_hi:[1,0]
	v_pk_add_f16 v10, v10, v12 op_sel:[0,1] op_sel_hi:[1,0] neg_lo:[0,1] neg_hi:[0,1]
	v_bfi_b32 v10, s4, v13, v10
	ds_write_b32 v26, v10 offset:3564
	v_pk_fma_f16 v10, v8, v7, v1 op_sel:[1,0,0] neg_lo:[1,0,0] neg_hi:[1,0,0]
	v_pk_fma_f16 v1, v8, v7, v1 op_sel:[1,0,0] neg_lo:[0,0,1] neg_hi:[0,0,1]
	v_pk_add_f16 v10, v10, v12 op_sel:[0,1] op_sel_hi:[1,0] neg_lo:[0,1] neg_hi:[0,1]
	v_pk_add_f16 v1, v1, v12 op_sel:[0,1] op_sel_hi:[1,0] neg_lo:[0,1] neg_hi:[0,1]
	v_bfi_b32 v1, s4, v10, v1
	ds_write_b32 v22, v1 offset:6156
	ds_read_b32 v1, v26 offset:3888
	ds_read_b32 v7, v22 offset:5832
	s_waitcnt lgkmcnt(0)
	v_pk_add_f16 v8, v1, v7 neg_lo:[0,1] neg_hi:[0,1]
	v_pk_add_f16 v1, v1, v7
	v_bfi_b32 v7, s4, v8, v1
	v_bfi_b32 v1, s4, v1, v8
	v_pk_mul_f16 v7, v7, 0.5 op_sel_hi:[1,0]
	v_pk_mul_f16 v1, v1, 0.5 op_sel_hi:[1,0]
	s_waitcnt vmcnt(2)
	v_pk_fma_f16 v8, v9, v7, v1 op_sel:[1,0,0]
	v_pk_mul_f16 v10, v9, v7 op_sel_hi:[0,1]
	v_pk_add_f16 v12, v8, v10 op_sel:[0,1] op_sel_hi:[1,0]
	v_pk_add_f16 v8, v8, v10 op_sel:[0,1] op_sel_hi:[1,0] neg_lo:[0,1] neg_hi:[0,1]
	v_bfi_b32 v8, s4, v12, v8
	ds_write_b32 v26, v8 offset:3888
	v_pk_fma_f16 v8, v9, v7, v1 op_sel:[1,0,0] neg_lo:[1,0,0] neg_hi:[1,0,0]
	v_pk_fma_f16 v1, v9, v7, v1 op_sel:[1,0,0] neg_lo:[0,0,1] neg_hi:[0,0,1]
	v_pk_add_f16 v8, v8, v10 op_sel:[0,1] op_sel_hi:[1,0] neg_lo:[0,1] neg_hi:[0,1]
	v_pk_add_f16 v1, v1, v10 op_sel:[0,1] op_sel_hi:[1,0] neg_lo:[0,1] neg_hi:[0,1]
	v_bfi_b32 v1, s4, v8, v1
	ds_write_b32 v22, v1 offset:5832
	ds_read_b32 v1, v26 offset:4212
	ds_read_b32 v7, v22 offset:5508
	;; [unrolled: 22-line block ×3, first 2 shown]
	s_waitcnt lgkmcnt(0)
	v_pk_add_f16 v8, v1, v7 neg_lo:[0,1] neg_hi:[0,1]
	v_pk_add_f16 v1, v1, v7
	v_bfi_b32 v7, s4, v8, v1
	v_bfi_b32 v1, s4, v1, v8
	v_pk_mul_f16 v7, v7, 0.5 op_sel_hi:[1,0]
	v_pk_mul_f16 v1, v1, 0.5 op_sel_hi:[1,0]
	s_waitcnt vmcnt(0)
	v_pk_fma_f16 v8, v6, v7, v1 op_sel:[1,0,0]
	v_pk_mul_f16 v9, v6, v7 op_sel_hi:[0,1]
	v_pk_add_f16 v10, v8, v9 op_sel:[0,1] op_sel_hi:[1,0]
	v_pk_add_f16 v8, v8, v9 op_sel:[0,1] op_sel_hi:[1,0] neg_lo:[0,1] neg_hi:[0,1]
	v_bfi_b32 v8, s4, v10, v8
	ds_write_b32 v26, v8 offset:4536
	v_pk_fma_f16 v8, v6, v7, v1 op_sel:[1,0,0] neg_lo:[1,0,0] neg_hi:[1,0,0]
	v_pk_fma_f16 v1, v6, v7, v1 op_sel:[1,0,0] neg_lo:[0,0,1] neg_hi:[0,0,1]
	v_pk_add_f16 v8, v8, v9 op_sel:[0,1] op_sel_hi:[1,0] neg_lo:[0,1] neg_hi:[0,1]
	v_pk_add_f16 v1, v1, v9 op_sel:[0,1] op_sel_hi:[1,0] neg_lo:[0,1] neg_hi:[0,1]
	v_bfi_b32 v1, s4, v8, v1
	ds_write_b32 v22, v1 offset:5184
	s_waitcnt lgkmcnt(0)
	s_barrier
	s_and_saveexec_b64 s[6:7], s[0:1]
	s_cbranch_execz .LBB0_20
; %bb.18:
	ds_read2_b32 v[6:7], v26 offset1:81
	v_mov_b32_e32 v1, s3
	v_add_co_u32_e32 v2, vcc, s2, v2
	v_addc_co_u32_e32 v1, vcc, v1, v3, vcc
	v_add_co_u32_e32 v3, vcc, v2, v4
	v_addc_co_u32_e32 v4, vcc, v1, v5, vcc
	s_waitcnt lgkmcnt(0)
	global_store_dword v[3:4], v6, off
	global_store_dword v[3:4], v7, off offset:324
	ds_read2_b32 v[5:6], v26 offset0:162 offset1:243
	v_add_u32_e32 v7, 0x400, v26
	ds_read2_b32 v[7:8], v7 offset0:68 offset1:149
	v_add_u32_e32 v9, 0x600, v26
	ds_read2_b32 v[9:10], v9 offset0:102 offset1:183
	s_waitcnt lgkmcnt(2)
	global_store_dword v[3:4], v5, off offset:648
	global_store_dword v[3:4], v6, off offset:972
	s_waitcnt lgkmcnt(1)
	global_store_dword v[3:4], v7, off offset:1296
	global_store_dword v[3:4], v8, off offset:1620
	;; [unrolled: 3-line block ×3, first 2 shown]
	v_add_u32_e32 v5, 0x800, v26
	ds_read2_b32 v[5:6], v5 offset0:136 offset1:217
	v_add_u32_e32 v7, 0xc00, v26
	ds_read2_b32 v[7:8], v7 offset0:42 offset1:123
	;; [unrolled: 2-line block ×3, first 2 shown]
	s_waitcnt lgkmcnt(2)
	global_store_dword v[3:4], v5, off offset:2592
	global_store_dword v[3:4], v6, off offset:2916
	s_waitcnt lgkmcnt(1)
	global_store_dword v[3:4], v7, off offset:3240
	global_store_dword v[3:4], v8, off offset:3564
	s_waitcnt lgkmcnt(0)
	global_store_dword v[3:4], v9, off offset:3888
	v_add_u32_e32 v7, 0x1000, v26
	v_add_co_u32_e32 v5, vcc, s5, v3
	ds_read2_b32 v[7:8], v7 offset0:110 offset1:191
	v_addc_co_u32_e32 v6, vcc, 0, v4, vcc
	v_add_u32_e32 v9, 0x1400, v26
	global_store_dword v[5:6], v10, off offset:116
	ds_read2_b32 v[9:10], v9 offset0:16 offset1:97
	v_add_u32_e32 v11, 0x1600, v26
	ds_read2_b32 v[11:12], v11 offset0:50 offset1:131
	s_waitcnt lgkmcnt(2)
	global_store_dword v[5:6], v7, off offset:440
	global_store_dword v[5:6], v8, off offset:764
	s_waitcnt lgkmcnt(1)
	global_store_dword v[5:6], v9, off offset:1088
	global_store_dword v[5:6], v10, off offset:1412
	;; [unrolled: 3-line block ×3, first 2 shown]
	v_add_u32_e32 v7, 0x1800, v26
	ds_read2_b32 v[7:8], v7 offset0:84 offset1:165
	v_add_u32_e32 v9, 0x1a00, v26
	ds_read2_b32 v[9:10], v9 offset0:118 offset1:199
	v_add_u32_e32 v11, 0x1c00, v26
	ds_read2_b32 v[11:12], v11 offset0:152 offset1:233
	s_waitcnt lgkmcnt(2)
	global_store_dword v[5:6], v7, off offset:2384
	global_store_dword v[5:6], v8, off offset:2708
	s_waitcnt lgkmcnt(1)
	global_store_dword v[5:6], v9, off offset:3032
	global_store_dword v[5:6], v10, off offset:3356
	;; [unrolled: 3-line block ×3, first 2 shown]
	v_add_u32_e32 v5, 0x2000, v26
	ds_read2_b32 v[5:6], v5 offset0:58 offset1:139
	v_add_u32_e32 v7, 0x2200, v26
	v_add_co_u32_e32 v3, vcc, 0x2000, v3
	ds_read2_b32 v[7:8], v7 offset0:92 offset1:173
	v_addc_co_u32_e32 v4, vcc, 0, v4, vcc
	s_movk_i32 s0, 0x50
	v_cmp_eq_u32_e32 vcc, s0, v0
	s_waitcnt lgkmcnt(1)
	global_store_dword v[3:4], v5, off offset:232
	global_store_dword v[3:4], v6, off offset:556
	s_waitcnt lgkmcnt(0)
	global_store_dword v[3:4], v7, off offset:880
	global_store_dword v[3:4], v8, off offset:1204
	s_and_b64 exec, exec, vcc
	s_cbranch_execz .LBB0_20
; %bb.19:
	v_mov_b32_e32 v0, 0
	ds_read_b32 v3, v0 offset:9720
	v_add_co_u32_e32 v0, vcc, 0x2000, v2
	v_addc_co_u32_e32 v1, vcc, 0, v1, vcc
	s_waitcnt lgkmcnt(0)
	global_store_dword v[0:1], v3, off offset:1528
.LBB0_20:
	s_endpgm
	.section	.rodata,"a",@progbits
	.p2align	6, 0x0
	.amdhsa_kernel fft_rtc_fwd_len2430_factors_10_3_3_3_3_3_wgs_81_tpt_81_halfLds_half_ip_CI_unitstride_sbrr_R2C_dirReg
		.amdhsa_group_segment_fixed_size 0
		.amdhsa_private_segment_fixed_size 0
		.amdhsa_kernarg_size 88
		.amdhsa_user_sgpr_count 6
		.amdhsa_user_sgpr_private_segment_buffer 1
		.amdhsa_user_sgpr_dispatch_ptr 0
		.amdhsa_user_sgpr_queue_ptr 0
		.amdhsa_user_sgpr_kernarg_segment_ptr 1
		.amdhsa_user_sgpr_dispatch_id 0
		.amdhsa_user_sgpr_flat_scratch_init 0
		.amdhsa_user_sgpr_private_segment_size 0
		.amdhsa_uses_dynamic_stack 0
		.amdhsa_system_sgpr_private_segment_wavefront_offset 0
		.amdhsa_system_sgpr_workgroup_id_x 1
		.amdhsa_system_sgpr_workgroup_id_y 0
		.amdhsa_system_sgpr_workgroup_id_z 0
		.amdhsa_system_sgpr_workgroup_info 0
		.amdhsa_system_vgpr_workitem_id 0
		.amdhsa_next_free_vgpr 108
		.amdhsa_next_free_sgpr 22
		.amdhsa_reserve_vcc 1
		.amdhsa_reserve_flat_scratch 0
		.amdhsa_float_round_mode_32 0
		.amdhsa_float_round_mode_16_64 0
		.amdhsa_float_denorm_mode_32 3
		.amdhsa_float_denorm_mode_16_64 3
		.amdhsa_dx10_clamp 1
		.amdhsa_ieee_mode 1
		.amdhsa_fp16_overflow 0
		.amdhsa_exception_fp_ieee_invalid_op 0
		.amdhsa_exception_fp_denorm_src 0
		.amdhsa_exception_fp_ieee_div_zero 0
		.amdhsa_exception_fp_ieee_overflow 0
		.amdhsa_exception_fp_ieee_underflow 0
		.amdhsa_exception_fp_ieee_inexact 0
		.amdhsa_exception_int_div_zero 0
	.end_amdhsa_kernel
	.text
.Lfunc_end0:
	.size	fft_rtc_fwd_len2430_factors_10_3_3_3_3_3_wgs_81_tpt_81_halfLds_half_ip_CI_unitstride_sbrr_R2C_dirReg, .Lfunc_end0-fft_rtc_fwd_len2430_factors_10_3_3_3_3_3_wgs_81_tpt_81_halfLds_half_ip_CI_unitstride_sbrr_R2C_dirReg
                                        ; -- End function
	.section	.AMDGPU.csdata,"",@progbits
; Kernel info:
; codeLenInByte = 22736
; NumSgprs: 26
; NumVgprs: 108
; ScratchSize: 0
; MemoryBound: 0
; FloatMode: 240
; IeeeMode: 1
; LDSByteSize: 0 bytes/workgroup (compile time only)
; SGPRBlocks: 3
; VGPRBlocks: 26
; NumSGPRsForWavesPerEU: 26
; NumVGPRsForWavesPerEU: 108
; Occupancy: 2
; WaveLimiterHint : 1
; COMPUTE_PGM_RSRC2:SCRATCH_EN: 0
; COMPUTE_PGM_RSRC2:USER_SGPR: 6
; COMPUTE_PGM_RSRC2:TRAP_HANDLER: 0
; COMPUTE_PGM_RSRC2:TGID_X_EN: 1
; COMPUTE_PGM_RSRC2:TGID_Y_EN: 0
; COMPUTE_PGM_RSRC2:TGID_Z_EN: 0
; COMPUTE_PGM_RSRC2:TIDIG_COMP_CNT: 0
	.type	__hip_cuid_9a3fda8b8f4fd549,@object ; @__hip_cuid_9a3fda8b8f4fd549
	.section	.bss,"aw",@nobits
	.globl	__hip_cuid_9a3fda8b8f4fd549
__hip_cuid_9a3fda8b8f4fd549:
	.byte	0                               ; 0x0
	.size	__hip_cuid_9a3fda8b8f4fd549, 1

	.ident	"AMD clang version 19.0.0git (https://github.com/RadeonOpenCompute/llvm-project roc-6.4.0 25133 c7fe45cf4b819c5991fe208aaa96edf142730f1d)"
	.section	".note.GNU-stack","",@progbits
	.addrsig
	.addrsig_sym __hip_cuid_9a3fda8b8f4fd549
	.amdgpu_metadata
---
amdhsa.kernels:
  - .args:
      - .actual_access:  read_only
        .address_space:  global
        .offset:         0
        .size:           8
        .value_kind:     global_buffer
      - .offset:         8
        .size:           8
        .value_kind:     by_value
      - .actual_access:  read_only
        .address_space:  global
        .offset:         16
        .size:           8
        .value_kind:     global_buffer
      - .actual_access:  read_only
        .address_space:  global
        .offset:         24
        .size:           8
        .value_kind:     global_buffer
      - .offset:         32
        .size:           8
        .value_kind:     by_value
      - .actual_access:  read_only
        .address_space:  global
        .offset:         40
        .size:           8
        .value_kind:     global_buffer
      - .actual_access:  read_only
        .address_space:  global
        .offset:         48
        .size:           8
        .value_kind:     global_buffer
      - .offset:         56
        .size:           4
        .value_kind:     by_value
      - .actual_access:  read_only
        .address_space:  global
        .offset:         64
        .size:           8
        .value_kind:     global_buffer
      - .actual_access:  read_only
        .address_space:  global
        .offset:         72
        .size:           8
        .value_kind:     global_buffer
      - .address_space:  global
        .offset:         80
        .size:           8
        .value_kind:     global_buffer
    .group_segment_fixed_size: 0
    .kernarg_segment_align: 8
    .kernarg_segment_size: 88
    .language:       OpenCL C
    .language_version:
      - 2
      - 0
    .max_flat_workgroup_size: 81
    .name:           fft_rtc_fwd_len2430_factors_10_3_3_3_3_3_wgs_81_tpt_81_halfLds_half_ip_CI_unitstride_sbrr_R2C_dirReg
    .private_segment_fixed_size: 0
    .sgpr_count:     26
    .sgpr_spill_count: 0
    .symbol:         fft_rtc_fwd_len2430_factors_10_3_3_3_3_3_wgs_81_tpt_81_halfLds_half_ip_CI_unitstride_sbrr_R2C_dirReg.kd
    .uniform_work_group_size: 1
    .uses_dynamic_stack: false
    .vgpr_count:     108
    .vgpr_spill_count: 0
    .wavefront_size: 64
amdhsa.target:   amdgcn-amd-amdhsa--gfx906
amdhsa.version:
  - 1
  - 2
...

	.end_amdgpu_metadata
